;; amdgpu-corpus repo=ROCm/rocFFT kind=compiled arch=gfx906 opt=O3
	.text
	.amdgcn_target "amdgcn-amd-amdhsa--gfx906"
	.amdhsa_code_object_version 6
	.protected	fft_rtc_back_len1008_factors_2_2_2_2_3_3_7_wgs_56_tpt_56_halfLds_dp_op_CI_CI_sbrr_dirReg ; -- Begin function fft_rtc_back_len1008_factors_2_2_2_2_3_3_7_wgs_56_tpt_56_halfLds_dp_op_CI_CI_sbrr_dirReg
	.globl	fft_rtc_back_len1008_factors_2_2_2_2_3_3_7_wgs_56_tpt_56_halfLds_dp_op_CI_CI_sbrr_dirReg
	.p2align	8
	.type	fft_rtc_back_len1008_factors_2_2_2_2_3_3_7_wgs_56_tpt_56_halfLds_dp_op_CI_CI_sbrr_dirReg,@function
fft_rtc_back_len1008_factors_2_2_2_2_3_3_7_wgs_56_tpt_56_halfLds_dp_op_CI_CI_sbrr_dirReg: ; @fft_rtc_back_len1008_factors_2_2_2_2_3_3_7_wgs_56_tpt_56_halfLds_dp_op_CI_CI_sbrr_dirReg
; %bb.0:
	s_load_dwordx4 s[16:19], s[4:5], 0x18
	s_load_dwordx4 s[8:11], s[4:5], 0x0
	;; [unrolled: 1-line block ×3, first 2 shown]
	v_mul_u32_u24_e32 v1, 0x493, v0
	v_add_u32_sdwa v6, s6, v1 dst_sel:DWORD dst_unused:UNUSED_PAD src0_sel:DWORD src1_sel:WORD_1
	s_waitcnt lgkmcnt(0)
	s_load_dwordx2 s[20:21], s[16:17], 0x0
	s_load_dwordx2 s[2:3], s[18:19], 0x0
	v_cmp_lt_u64_e64 s[0:1], s[10:11], 2
	v_mov_b32_e32 v1, 0
	v_mov_b32_e32 v4, 0
	;; [unrolled: 1-line block ×3, first 2 shown]
	s_and_b64 vcc, exec, s[0:1]
	v_mov_b32_e32 v5, 0
	s_cbranch_vccnz .LBB0_8
; %bb.1:
	s_load_dwordx2 s[0:1], s[4:5], 0x10
	s_add_u32 s6, s18, 8
	s_addc_u32 s7, s19, 0
	s_add_u32 s22, s16, 8
	v_mov_b32_e32 v4, 0
	s_addc_u32 s23, s17, 0
	v_mov_b32_e32 v5, 0
	s_waitcnt lgkmcnt(0)
	s_add_u32 s24, s0, 8
	v_mov_b32_e32 v73, v5
	s_addc_u32 s25, s1, 0
	s_mov_b64 s[26:27], 1
	v_mov_b32_e32 v72, v4
.LBB0_2:                                ; =>This Inner Loop Header: Depth=1
	s_load_dwordx2 s[28:29], s[24:25], 0x0
                                        ; implicit-def: $vgpr74_vgpr75
	s_waitcnt lgkmcnt(0)
	v_or_b32_e32 v2, s29, v7
	v_cmp_ne_u64_e32 vcc, 0, v[1:2]
	s_and_saveexec_b64 s[0:1], vcc
	s_xor_b64 s[30:31], exec, s[0:1]
	s_cbranch_execz .LBB0_4
; %bb.3:                                ;   in Loop: Header=BB0_2 Depth=1
	v_cvt_f32_u32_e32 v2, s28
	v_cvt_f32_u32_e32 v3, s29
	s_sub_u32 s0, 0, s28
	s_subb_u32 s1, 0, s29
	v_mac_f32_e32 v2, 0x4f800000, v3
	v_rcp_f32_e32 v2, v2
	v_mul_f32_e32 v2, 0x5f7ffffc, v2
	v_mul_f32_e32 v3, 0x2f800000, v2
	v_trunc_f32_e32 v3, v3
	v_mac_f32_e32 v2, 0xcf800000, v3
	v_cvt_u32_f32_e32 v3, v3
	v_cvt_u32_f32_e32 v2, v2
	v_mul_lo_u32 v8, s0, v3
	v_mul_hi_u32 v9, s0, v2
	v_mul_lo_u32 v11, s1, v2
	v_mul_lo_u32 v10, s0, v2
	v_add_u32_e32 v8, v9, v8
	v_add_u32_e32 v8, v8, v11
	v_mul_hi_u32 v9, v2, v10
	v_mul_lo_u32 v11, v2, v8
	v_mul_hi_u32 v13, v2, v8
	v_mul_hi_u32 v12, v3, v10
	v_mul_lo_u32 v10, v3, v10
	v_mul_hi_u32 v14, v3, v8
	v_add_co_u32_e32 v9, vcc, v9, v11
	v_addc_co_u32_e32 v11, vcc, 0, v13, vcc
	v_mul_lo_u32 v8, v3, v8
	v_add_co_u32_e32 v9, vcc, v9, v10
	v_addc_co_u32_e32 v9, vcc, v11, v12, vcc
	v_addc_co_u32_e32 v10, vcc, 0, v14, vcc
	v_add_co_u32_e32 v8, vcc, v9, v8
	v_addc_co_u32_e32 v9, vcc, 0, v10, vcc
	v_add_co_u32_e32 v2, vcc, v2, v8
	v_addc_co_u32_e32 v3, vcc, v3, v9, vcc
	v_mul_lo_u32 v8, s0, v3
	v_mul_hi_u32 v9, s0, v2
	v_mul_lo_u32 v10, s1, v2
	v_mul_lo_u32 v11, s0, v2
	v_add_u32_e32 v8, v9, v8
	v_add_u32_e32 v8, v8, v10
	v_mul_lo_u32 v12, v2, v8
	v_mul_hi_u32 v13, v2, v11
	v_mul_hi_u32 v14, v2, v8
	;; [unrolled: 1-line block ×3, first 2 shown]
	v_mul_lo_u32 v11, v3, v11
	v_mul_hi_u32 v9, v3, v8
	v_add_co_u32_e32 v12, vcc, v13, v12
	v_addc_co_u32_e32 v13, vcc, 0, v14, vcc
	v_mul_lo_u32 v8, v3, v8
	v_add_co_u32_e32 v11, vcc, v12, v11
	v_addc_co_u32_e32 v10, vcc, v13, v10, vcc
	v_addc_co_u32_e32 v9, vcc, 0, v9, vcc
	v_add_co_u32_e32 v8, vcc, v10, v8
	v_addc_co_u32_e32 v9, vcc, 0, v9, vcc
	v_add_co_u32_e32 v8, vcc, v2, v8
	v_addc_co_u32_e32 v9, vcc, v3, v9, vcc
	v_mad_u64_u32 v[2:3], s[0:1], v6, v9, 0
	v_mul_hi_u32 v10, v6, v8
	v_add_co_u32_e32 v10, vcc, v10, v2
	v_addc_co_u32_e32 v11, vcc, 0, v3, vcc
	v_mad_u64_u32 v[2:3], s[0:1], v7, v8, 0
	v_mad_u64_u32 v[8:9], s[0:1], v7, v9, 0
	v_add_co_u32_e32 v2, vcc, v10, v2
	v_addc_co_u32_e32 v2, vcc, v11, v3, vcc
	v_addc_co_u32_e32 v3, vcc, 0, v9, vcc
	v_add_co_u32_e32 v8, vcc, v2, v8
	v_addc_co_u32_e32 v9, vcc, 0, v3, vcc
	v_mul_lo_u32 v10, s29, v8
	v_mul_lo_u32 v11, s28, v9
	v_mad_u64_u32 v[2:3], s[0:1], s28, v8, 0
	v_add3_u32 v3, v3, v11, v10
	v_sub_u32_e32 v10, v7, v3
	v_mov_b32_e32 v11, s29
	v_sub_co_u32_e32 v2, vcc, v6, v2
	v_subb_co_u32_e64 v10, s[0:1], v10, v11, vcc
	v_subrev_co_u32_e64 v11, s[0:1], s28, v2
	v_subbrev_co_u32_e64 v10, s[0:1], 0, v10, s[0:1]
	v_cmp_le_u32_e64 s[0:1], s29, v10
	v_cndmask_b32_e64 v12, 0, -1, s[0:1]
	v_cmp_le_u32_e64 s[0:1], s28, v11
	v_cndmask_b32_e64 v11, 0, -1, s[0:1]
	v_cmp_eq_u32_e64 s[0:1], s29, v10
	v_cndmask_b32_e64 v10, v12, v11, s[0:1]
	v_add_co_u32_e64 v11, s[0:1], 2, v8
	v_addc_co_u32_e64 v12, s[0:1], 0, v9, s[0:1]
	v_add_co_u32_e64 v13, s[0:1], 1, v8
	v_addc_co_u32_e64 v14, s[0:1], 0, v9, s[0:1]
	v_subb_co_u32_e32 v3, vcc, v7, v3, vcc
	v_cmp_ne_u32_e64 s[0:1], 0, v10
	v_cmp_le_u32_e32 vcc, s29, v3
	v_cndmask_b32_e64 v10, v14, v12, s[0:1]
	v_cndmask_b32_e64 v12, 0, -1, vcc
	v_cmp_le_u32_e32 vcc, s28, v2
	v_cndmask_b32_e64 v2, 0, -1, vcc
	v_cmp_eq_u32_e32 vcc, s29, v3
	v_cndmask_b32_e32 v2, v12, v2, vcc
	v_cmp_ne_u32_e32 vcc, 0, v2
	v_cndmask_b32_e64 v2, v13, v11, s[0:1]
	v_cndmask_b32_e32 v75, v9, v10, vcc
	v_cndmask_b32_e32 v74, v8, v2, vcc
.LBB0_4:                                ;   in Loop: Header=BB0_2 Depth=1
	s_andn2_saveexec_b64 s[0:1], s[30:31]
	s_cbranch_execz .LBB0_6
; %bb.5:                                ;   in Loop: Header=BB0_2 Depth=1
	v_cvt_f32_u32_e32 v2, s28
	s_sub_i32 s30, 0, s28
	v_mov_b32_e32 v75, v1
	v_rcp_iflag_f32_e32 v2, v2
	v_mul_f32_e32 v2, 0x4f7ffffe, v2
	v_cvt_u32_f32_e32 v2, v2
	v_mul_lo_u32 v3, s30, v2
	v_mul_hi_u32 v3, v2, v3
	v_add_u32_e32 v2, v2, v3
	v_mul_hi_u32 v2, v6, v2
	v_mul_lo_u32 v3, v2, s28
	v_add_u32_e32 v8, 1, v2
	v_sub_u32_e32 v3, v6, v3
	v_subrev_u32_e32 v9, s28, v3
	v_cmp_le_u32_e32 vcc, s28, v3
	v_cndmask_b32_e32 v3, v3, v9, vcc
	v_cndmask_b32_e32 v2, v2, v8, vcc
	v_add_u32_e32 v8, 1, v2
	v_cmp_le_u32_e32 vcc, s28, v3
	v_cndmask_b32_e32 v74, v2, v8, vcc
.LBB0_6:                                ;   in Loop: Header=BB0_2 Depth=1
	s_or_b64 exec, exec, s[0:1]
	v_mul_lo_u32 v8, v75, s28
	v_mul_lo_u32 v9, v74, s29
	v_mad_u64_u32 v[2:3], s[0:1], v74, s28, 0
	s_load_dwordx2 s[0:1], s[22:23], 0x0
	s_load_dwordx2 s[28:29], s[6:7], 0x0
	v_add3_u32 v3, v3, v9, v8
	v_sub_co_u32_e32 v2, vcc, v6, v2
	v_subb_co_u32_e32 v3, vcc, v7, v3, vcc
	s_waitcnt lgkmcnt(0)
	v_mul_lo_u32 v6, s0, v3
	v_mul_lo_u32 v7, s1, v2
	v_mad_u64_u32 v[4:5], s[0:1], s0, v2, v[4:5]
	v_mul_lo_u32 v3, s28, v3
	v_mul_lo_u32 v8, s29, v2
	v_mad_u64_u32 v[72:73], s[0:1], s28, v2, v[72:73]
	s_add_u32 s26, s26, 1
	s_addc_u32 s27, s27, 0
	s_add_u32 s6, s6, 8
	v_add3_u32 v73, v8, v73, v3
	s_addc_u32 s7, s7, 0
	v_mov_b32_e32 v2, s10
	s_add_u32 s22, s22, 8
	v_mov_b32_e32 v3, s11
	s_addc_u32 s23, s23, 0
	v_cmp_ge_u64_e32 vcc, s[26:27], v[2:3]
	s_add_u32 s24, s24, 8
	v_add3_u32 v5, v7, v5, v6
	s_addc_u32 s25, s25, 0
	s_cbranch_vccnz .LBB0_9
; %bb.7:                                ;   in Loop: Header=BB0_2 Depth=1
	v_mov_b32_e32 v6, v74
	v_mov_b32_e32 v7, v75
	s_branch .LBB0_2
.LBB0_8:
	v_mov_b32_e32 v73, v5
	v_mov_b32_e32 v75, v7
	;; [unrolled: 1-line block ×4, first 2 shown]
.LBB0_9:
	s_load_dwordx2 s[0:1], s[4:5], 0x28
	s_lshl_b64 s[10:11], s[10:11], 3
	s_add_u32 s4, s18, s10
	s_addc_u32 s5, s19, s11
                                        ; implicit-def: $vgpr106
                                        ; implicit-def: $vgpr108
                                        ; implicit-def: $vgpr107
                                        ; implicit-def: $vgpr76
                                        ; implicit-def: $vgpr77
                                        ; implicit-def: $vgpr78
                                        ; implicit-def: $vgpr79
                                        ; implicit-def: $vgpr80
                                        ; implicit-def: $vgpr81
	s_waitcnt lgkmcnt(0)
	v_cmp_gt_u64_e32 vcc, s[0:1], v[74:75]
	v_cmp_le_u64_e64 s[0:1], s[0:1], v[74:75]
	s_and_saveexec_b64 s[6:7], s[0:1]
	s_xor_b64 s[0:1], exec, s[6:7]
	s_cbranch_execz .LBB0_11
; %bb.10:
	s_mov_b32 s6, 0x4924925
	v_mul_hi_u32 v1, v0, s6
                                        ; implicit-def: $vgpr4_vgpr5
	v_mul_u32_u24_e32 v1, 56, v1
	v_sub_u32_e32 v106, v0, v1
	v_add_u32_e32 v108, 56, v106
	v_add_u32_e32 v107, 0x70, v106
	;; [unrolled: 1-line block ×7, first 2 shown]
	v_or_b32_e32 v81, 0x1c0, v106
                                        ; implicit-def: $vgpr0
.LBB0_11:
	s_or_saveexec_b64 s[6:7], s[0:1]
                                        ; implicit-def: $vgpr26_vgpr27
                                        ; implicit-def: $vgpr10_vgpr11
                                        ; implicit-def: $vgpr30_vgpr31
                                        ; implicit-def: $vgpr14_vgpr15
                                        ; implicit-def: $vgpr34_vgpr35
                                        ; implicit-def: $vgpr18_vgpr19
                                        ; implicit-def: $vgpr38_vgpr39
                                        ; implicit-def: $vgpr22_vgpr23
                                        ; implicit-def: $vgpr58_vgpr59
                                        ; implicit-def: $vgpr42_vgpr43
                                        ; implicit-def: $vgpr62_vgpr63
                                        ; implicit-def: $vgpr50_vgpr51
                                        ; implicit-def: $vgpr66_vgpr67
                                        ; implicit-def: $vgpr54_vgpr55
                                        ; implicit-def: $vgpr70_vgpr71
                                        ; implicit-def: $vgpr46_vgpr47
                                        ; implicit-def: $vgpr6_vgpr7
                                        ; implicit-def: $vgpr2_vgpr3
	s_xor_b64 exec, exec, s[6:7]
	s_cbranch_execz .LBB0_13
; %bb.12:
	s_add_u32 s0, s16, s10
	s_mov_b32 s10, 0x4924925
	s_addc_u32 s1, s17, s11
	v_mul_hi_u32 v1, v0, s10
	s_load_dwordx2 s[0:1], s[0:1], 0x0
	v_mul_u32_u24_e32 v1, 56, v1
	v_sub_u32_e32 v106, v0, v1
	s_waitcnt lgkmcnt(0)
	v_mul_lo_u32 v8, s1, v74
	v_mad_u64_u32 v[0:1], s[10:11], s20, v106, 0
	v_mul_lo_u32 v9, s0, v75
	v_mad_u64_u32 v[2:3], s[0:1], s0, v74, 0
	v_add_u32_e32 v108, 56, v106
	v_add_u32_e32 v17, 0x230, v106
	v_mad_u64_u32 v[6:7], s[0:1], s21, v106, v[1:2]
	v_add3_u32 v3, v3, v9, v8
	v_lshlrev_b64 v[2:3], 4, v[2:3]
	v_mov_b32_e32 v1, v6
	v_mov_b32_e32 v6, s13
	v_add_co_u32_e64 v7, s[0:1], s12, v2
	v_add_u32_e32 v8, 0x1f8, v106
	v_addc_co_u32_e64 v6, s[0:1], v6, v3, s[0:1]
	v_lshlrev_b64 v[2:3], 4, v[4:5]
	v_mad_u64_u32 v[4:5], s[0:1], s20, v8, 0
	v_add_co_u32_e64 v20, s[0:1], v7, v2
	v_mov_b32_e32 v2, v5
	v_addc_co_u32_e64 v21, s[0:1], v6, v3, s[0:1]
	v_lshlrev_b64 v[0:1], 4, v[0:1]
	v_mad_u64_u32 v[2:3], s[0:1], s21, v8, v[2:3]
	v_add_co_u32_e64 v8, s[0:1], v20, v0
	v_addc_co_u32_e64 v9, s[0:1], v21, v1, s[0:1]
	v_mad_u64_u32 v[10:11], s[0:1], s20, v108, 0
	v_mov_b32_e32 v5, v2
	v_lshlrev_b64 v[0:1], 4, v[4:5]
	v_add_u32_e32 v107, 0x70, v106
	v_add_co_u32_e64 v12, s[0:1], v20, v0
	v_mov_b32_e32 v0, v11
	v_addc_co_u32_e64 v13, s[0:1], v21, v1, s[0:1]
	v_mad_u64_u32 v[14:15], s[0:1], s21, v108, v[0:1]
	v_mad_u64_u32 v[15:16], s[0:1], s20, v17, 0
	v_mov_b32_e32 v11, v14
	global_load_dwordx4 v[0:3], v[8:9], off
	global_load_dwordx4 v[4:7], v[12:13], off
	v_lshlrev_b64 v[8:9], 4, v[10:11]
	v_mov_b32_e32 v10, v16
	v_mad_u64_u32 v[10:11], s[0:1], s21, v17, v[10:11]
	v_mad_u64_u32 v[11:12], s[0:1], s20, v107, 0
	v_add_co_u32_e64 v8, s[0:1], v20, v8
	v_mov_b32_e32 v16, v10
	v_mov_b32_e32 v10, v12
	v_addc_co_u32_e64 v9, s[0:1], v21, v9, s[0:1]
	v_lshlrev_b64 v[13:14], 4, v[15:16]
	v_mad_u64_u32 v[15:16], s[0:1], s21, v107, v[10:11]
	v_add_u32_e32 v18, 0x268, v106
	v_mad_u64_u32 v[16:17], s[0:1], s20, v18, 0
	v_mov_b32_e32 v12, v15
	v_add_co_u32_e64 v13, s[0:1], v20, v13
	v_lshlrev_b64 v[10:11], 4, v[11:12]
	v_mov_b32_e32 v12, v17
	v_addc_co_u32_e64 v14, s[0:1], v21, v14, s[0:1]
	v_mad_u64_u32 v[17:18], s[0:1], s21, v18, v[12:13]
	v_add_u32_e32 v76, 0xa8, v106
	v_mad_u64_u32 v[18:19], s[0:1], s20, v76, 0
	v_add_co_u32_e64 v82, s[0:1], v20, v10
	v_mov_b32_e32 v12, v19
	v_addc_co_u32_e64 v83, s[0:1], v21, v11, s[0:1]
	v_lshlrev_b64 v[10:11], 4, v[16:17]
	v_mad_u64_u32 v[15:16], s[0:1], s21, v76, v[12:13]
	v_add_u32_e32 v22, 0x2a0, v106
	v_mad_u64_u32 v[16:17], s[0:1], s20, v22, 0
	v_add_co_u32_e64 v84, s[0:1], v20, v10
	v_mov_b32_e32 v19, v15
	v_mov_b32_e32 v12, v17
	v_addc_co_u32_e64 v85, s[0:1], v21, v11, s[0:1]
	v_lshlrev_b64 v[10:11], 4, v[18:19]
	v_mad_u64_u32 v[17:18], s[0:1], s21, v22, v[12:13]
	v_add_u32_e32 v77, 0xe0, v106
	v_mad_u64_u32 v[18:19], s[0:1], s20, v77, 0
	v_add_co_u32_e64 v86, s[0:1], v20, v10
	v_mov_b32_e32 v12, v19
	v_addc_co_u32_e64 v87, s[0:1], v21, v11, s[0:1]
	v_lshlrev_b64 v[10:11], 4, v[16:17]
	v_mad_u64_u32 v[15:16], s[0:1], s21, v77, v[12:13]
	v_add_u32_e32 v22, 0x2d8, v106
	v_mad_u64_u32 v[16:17], s[0:1], s20, v22, 0
	v_add_co_u32_e64 v88, s[0:1], v20, v10
	v_mov_b32_e32 v19, v15
	v_mov_b32_e32 v12, v17
	v_addc_co_u32_e64 v89, s[0:1], v21, v11, s[0:1]
	v_lshlrev_b64 v[10:11], 4, v[18:19]
	;; [unrolled: 15-line block ×4, first 2 shown]
	v_mad_u64_u32 v[17:18], s[0:1], s21, v22, v[12:13]
	v_add_u32_e32 v80, 0x188, v106
	v_mad_u64_u32 v[18:19], s[0:1], s20, v80, 0
	v_add_co_u32_e64 v98, s[0:1], v20, v10
	v_mov_b32_e32 v12, v19
	v_addc_co_u32_e64 v99, s[0:1], v21, v11, s[0:1]
	v_lshlrev_b64 v[10:11], 4, v[16:17]
	v_mad_u64_u32 v[15:16], s[0:1], s21, v80, v[12:13]
	v_or_b32_e32 v22, 0x380, v106
	v_mad_u64_u32 v[16:17], s[0:1], s20, v22, 0
	v_add_co_u32_e64 v100, s[0:1], v20, v10
	v_mov_b32_e32 v19, v15
	v_mov_b32_e32 v12, v17
	v_addc_co_u32_e64 v101, s[0:1], v21, v11, s[0:1]
	v_lshlrev_b64 v[10:11], 4, v[18:19]
	v_mad_u64_u32 v[17:18], s[0:1], s21, v22, v[12:13]
	v_or_b32_e32 v81, 0x1c0, v106
	v_mad_u64_u32 v[18:19], s[0:1], s20, v81, 0
	v_add_co_u32_e64 v102, s[0:1], v20, v10
	v_mov_b32_e32 v12, v19
	v_addc_co_u32_e64 v103, s[0:1], v21, v11, s[0:1]
	v_lshlrev_b64 v[10:11], 4, v[16:17]
	v_mad_u64_u32 v[15:16], s[0:1], s21, v81, v[12:13]
	v_add_u32_e32 v22, 0x3b8, v106
	v_mad_u64_u32 v[16:17], s[0:1], s20, v22, 0
	v_add_co_u32_e64 v104, s[0:1], v20, v10
	v_mov_b32_e32 v19, v15
	v_mov_b32_e32 v12, v17
	v_addc_co_u32_e64 v105, s[0:1], v21, v11, s[0:1]
	v_lshlrev_b64 v[10:11], 4, v[18:19]
	v_mad_u64_u32 v[17:18], s[0:1], s21, v22, v[12:13]
	v_add_co_u32_e64 v109, s[0:1], v20, v10
	global_load_dwordx4 v[44:47], v[8:9], off
	global_load_dwordx4 v[68:71], v[13:14], off
	v_lshlrev_b64 v[8:9], 4, v[16:17]
	v_addc_co_u32_e64 v110, s[0:1], v21, v11, s[0:1]
	v_add_co_u32_e64 v111, s[0:1], v20, v8
	v_addc_co_u32_e64 v112, s[0:1], v21, v9, s[0:1]
	global_load_dwordx4 v[52:55], v[82:83], off
	global_load_dwordx4 v[64:67], v[84:85], off
	;; [unrolled: 1-line block ×14, first 2 shown]
.LBB0_13:
	s_or_b64 exec, exec, s[6:7]
	s_waitcnt vmcnt(8)
	v_add_f64 v[100:101], v[40:41], -v[56:57]
	v_add_f64 v[60:61], v[48:49], -v[60:61]
	;; [unrolled: 1-line block ×5, first 2 shown]
	s_waitcnt vmcnt(6)
	v_add_f64 v[36:37], v[20:21], -v[36:37]
	v_add_f64 v[4:5], v[2:3], -v[6:7]
	s_waitcnt vmcnt(4)
	v_add_f64 v[32:33], v[16:17], -v[32:33]
	v_fma_f64 v[98:99], v[40:41], 2.0, -v[100:101]
	v_add_f64 v[40:41], v[22:23], -v[38:39]
	s_waitcnt vmcnt(2)
	v_add_f64 v[28:29], v[12:13], -v[28:29]
	s_waitcnt vmcnt(0)
	v_add_f64 v[24:25], v[8:9], -v[24:25]
	v_add_f64 v[88:89], v[46:47], -v[70:71]
	;; [unrolled: 1-line block ×5, first 2 shown]
	v_fma_f64 v[58:59], v[48:49], 2.0, -v[60:61]
	v_add_f64 v[48:49], v[14:15], -v[30:31]
	v_fma_f64 v[82:83], v[0:1], 2.0, -v[84:85]
	v_fma_f64 v[66:67], v[44:45], 2.0, -v[68:69]
	;; [unrolled: 1-line block ×3, first 2 shown]
	v_add_f64 v[44:45], v[18:19], -v[34:35]
	v_fma_f64 v[34:35], v[20:21], 2.0, -v[36:37]
	v_add_f64 v[52:53], v[10:11], -v[26:27]
	v_fma_f64 v[2:3], v[2:3], 2.0, -v[4:5]
	v_fma_f64 v[38:39], v[22:23], 2.0, -v[40:41]
	;; [unrolled: 1-line block ×10, first 2 shown]
	v_lshl_add_u32 v0, v106, 4, 0
	v_lshl_add_u32 v109, v108, 4, 0
	;; [unrolled: 1-line block ×6, first 2 shown]
	v_lshlrev_b32_e32 v6, 3, v106
	v_fma_f64 v[42:43], v[18:19], 2.0, -v[44:45]
	ds_write_b128 v0, v[82:85]
	ds_write_b128 v109, v[66:69]
	;; [unrolled: 1-line block ×6, first 2 shown]
	v_lshl_add_u32 v34, v80, 4, 0
	v_sub_u32_e32 v110, v0, v6
	v_lshlrev_b32_e32 v58, 3, v107
	v_lshlrev_b32_e32 v8, 3, v76
	;; [unrolled: 1-line block ×3, first 2 shown]
	v_fma_f64 v[50:51], v[10:11], 2.0, -v[52:53]
	v_lshl_add_u32 v15, v79, 4, 0
	v_lshl_add_u32 v35, v81, 4, 0
	v_add_u32_e32 v111, 0xc00, v110
	v_lshlrev_b32_e32 v6, 3, v108
	v_sub_u32_e32 v7, v56, v58
	v_add_u32_e32 v112, 0x1000, v110
	v_sub_u32_e32 v8, v1, v8
	v_lshlrev_b32_e32 v9, 3, v77
	v_add_u32_e32 v11, 0x1400, v110
	v_lshlrev_b32_e32 v10, 3, v78
	v_lshlrev_b32_e32 v12, 3, v79
	v_add_u32_e32 v113, 0x1800, v110
	v_sub_u32_e32 v16, v34, v16
	v_lshlrev_b32_e32 v17, 3, v81
	v_and_b32_e32 v71, 1, v106
	s_load_dwordx2 s[4:5], s[4:5], 0x0
	ds_write_b128 v15, v[30:33]
	ds_write_b128 v34, v[26:29]
	;; [unrolled: 1-line block ×3, first 2 shown]
	s_waitcnt lgkmcnt(0)
	; wave barrier
	s_waitcnt lgkmcnt(0)
	ds_read_b64 v[54:55], v110
	ds_read_b64 v[59:60], v7
	ds_read2_b64 v[18:21], v111 offset0:120 offset1:176
	v_sub_u32_e32 v57, v109, v6
	ds_read2_b64 v[22:25], v112 offset0:104 offset1:160
	v_sub_u32_e32 v9, v13, v9
	;; [unrolled: 2-line block ×3, first 2 shown]
	v_sub_u32_e32 v12, v15, v12
	ds_read_b64 v[61:62], v8
	ds_read_b64 v[63:64], v9
	;; [unrolled: 1-line block ×4, first 2 shown]
	ds_read2_b64 v[30:33], v113 offset0:72 offset1:128
	v_sub_u32_e32 v17, v35, v17
	ds_read_b64 v[69:70], v16
	ds_read_b64 v[82:83], v17
	;; [unrolled: 1-line block ×3, first 2 shown]
	ds_read_b64 v[98:99], v110 offset:7616
	s_waitcnt lgkmcnt(0)
	; wave barrier
	s_waitcnt lgkmcnt(0)
	ds_write_b128 v0, v[2:5]
	ds_write_b128 v109, v[86:89]
	;; [unrolled: 1-line block ×9, first 2 shown]
	v_lshlrev_b32_e32 v0, 4, v71
	s_waitcnt lgkmcnt(0)
	; wave barrier
	s_waitcnt lgkmcnt(0)
	global_load_dwordx4 v[34:37], v0, s[8:9]
	v_lshlrev_b32_e32 v2, 1, v79
	v_lshlrev_b32_e32 v1, 1, v80
	ds_read_b64 v[79:80], v110
	ds_read2_b64 v[38:41], v111 offset0:120 offset1:176
	ds_read_b64 v[86:87], v7
	ds_read2_b64 v[42:45], v112 offset0:104 offset1:160
	ds_read2_b64 v[46:49], v11 offset0:88 offset1:144
	ds_read_b64 v[88:89], v8
	ds_read_b64 v[90:91], v9
	ds_read_b64 v[92:93], v10
	ds_read_b64 v[94:95], v12
	ds_read2_b64 v[50:53], v113 offset0:72 offset1:128
	ds_read_b64 v[114:115], v16
	ds_read_b64 v[116:117], v17
	;; [unrolled: 1-line block ×3, first 2 shown]
	ds_read_b64 v[120:121], v110 offset:7616
	v_lshlrev_b32_e32 v15, 1, v106
	s_movk_i32 s0, 0x7c
	v_lshlrev_b32_e32 v0, 1, v81
	v_lshlrev_b32_e32 v14, 1, v108
	;; [unrolled: 1-line block ×3, first 2 shown]
	s_waitcnt lgkmcnt(0)
	; wave barrier
	s_waitcnt lgkmcnt(0)
	v_lshlrev_b32_e32 v5, 1, v76
	v_lshlrev_b32_e32 v4, 1, v77
	;; [unrolled: 1-line block ×3, first 2 shown]
	s_movk_i32 s1, 0x2fc
	s_mov_b32 s6, 0xe8584caa
	s_mov_b32 s7, 0xbfebb67a
	;; [unrolled: 1-line block ×4, first 2 shown]
	s_waitcnt vmcnt(0)
	v_mul_f64 v[96:97], v[38:39], v[36:37]
	v_mul_f64 v[102:103], v[40:41], v[36:37]
	;; [unrolled: 1-line block ×8, first 2 shown]
	v_fma_f64 v[18:19], v[18:19], v[34:35], v[96:97]
	v_mul_f64 v[96:97], v[42:43], v[36:37]
	v_fma_f64 v[20:21], v[20:21], v[34:35], v[102:103]
	v_mul_f64 v[102:103], v[44:45], v[36:37]
	v_fma_f64 v[40:41], v[40:41], v[34:35], -v[104:105]
	v_mul_f64 v[104:105], v[24:25], v[36:37]
	v_fma_f64 v[38:39], v[38:39], v[34:35], -v[100:101]
	v_mul_f64 v[100:101], v[22:23], v[36:37]
	v_fma_f64 v[26:27], v[26:27], v[34:35], v[122:123]
	v_fma_f64 v[22:23], v[22:23], v[34:35], v[96:97]
	v_mul_f64 v[96:97], v[50:51], v[36:37]
	v_mul_f64 v[122:123], v[120:121], v[36:37]
	v_fma_f64 v[24:25], v[24:25], v[34:35], v[102:103]
	v_mul_f64 v[102:103], v[52:53], v[36:37]
	v_fma_f64 v[44:45], v[44:45], v[34:35], -v[104:105]
	v_mul_f64 v[104:105], v[32:33], v[36:37]
	v_fma_f64 v[42:43], v[42:43], v[34:35], -v[100:101]
	v_mul_f64 v[100:101], v[30:31], v[36:37]
	v_fma_f64 v[30:31], v[30:31], v[34:35], v[96:97]
	v_fma_f64 v[96:97], v[98:99], v[34:35], v[122:123]
	v_mul_f64 v[36:37], v[98:99], v[36:37]
	v_add_f64 v[18:19], v[54:55], -v[18:19]
	v_fma_f64 v[28:29], v[28:29], v[34:35], v[126:127]
	v_fma_f64 v[32:33], v[32:33], v[34:35], v[102:103]
	v_fma_f64 v[46:47], v[46:47], v[34:35], -v[124:125]
	v_fma_f64 v[52:53], v[52:53], v[34:35], -v[104:105]
	;; [unrolled: 1-line block ×3, first 2 shown]
	v_add_f64 v[96:97], v[82:83], -v[96:97]
	v_fma_f64 v[50:51], v[50:51], v[34:35], -v[100:101]
	v_fma_f64 v[34:35], v[120:121], v[34:35], -v[36:37]
	v_fma_f64 v[36:37], v[54:55], 2.0, -v[18:19]
	v_add_f64 v[38:39], v[79:80], -v[38:39]
	v_add_f64 v[20:21], v[84:85], -v[20:21]
	;; [unrolled: 1-line block ×14, first 2 shown]
	v_fma_f64 v[81:82], v[82:83], 2.0, -v[96:97]
	v_and_or_b32 v83, v15, s0, v71
	v_add_f64 v[50:51], v[94:95], -v[50:51]
	v_add_f64 v[34:35], v[116:117], -v[34:35]
	v_lshl_add_u32 v83, v83, 3, 0
	s_movk_i32 s0, 0xfc
	ds_write2_b64 v83, v[36:37], v[18:19] offset1:2
	v_and_or_b32 v18, v14, s0, v71
	s_movk_i32 s0, 0x1fc
	v_fma_f64 v[54:55], v[79:80], 2.0, -v[38:39]
	v_fma_f64 v[79:80], v[84:85], 2.0, -v[20:21]
	;; [unrolled: 1-line block ×8, first 2 shown]
	v_lshl_add_u32 v36, v18, 3, 0
	v_and_or_b32 v18, v13, s0, v71
	v_fma_f64 v[84:85], v[118:119], 2.0, -v[40:41]
	v_lshl_add_u32 v37, v18, 3, 0
	v_and_or_b32 v18, v5, s0, v71
	s_movk_i32 s0, 0x3fc
	v_fma_f64 v[86:87], v[86:87], 2.0, -v[42:43]
	v_lshl_add_u32 v104, v18, 3, 0
	v_and_or_b32 v18, v4, s0, v71
	v_fma_f64 v[88:89], v[88:89], 2.0, -v[44:45]
	v_lshl_add_u32 v105, v18, 3, 0
	v_and_or_b32 v18, v3, s1, v71
	v_fma_f64 v[90:91], v[90:91], 2.0, -v[46:47]
	v_fma_f64 v[98:99], v[114:115], 2.0, -v[52:53]
	v_lshl_add_u32 v114, v18, 3, 0
	v_and_or_b32 v18, v2, s0, v71
	v_fma_f64 v[92:93], v[92:93], 2.0, -v[48:49]
	v_lshl_add_u32 v115, v18, 3, 0
	v_and_or_b32 v18, v1, s0, v71
	v_fma_f64 v[94:95], v[94:95], 2.0, -v[50:51]
	v_fma_f64 v[100:101], v[116:117], 2.0, -v[34:35]
	v_lshl_add_u32 v116, v18, 3, 0
	v_and_or_b32 v18, v0, s0, v71
	v_lshl_add_u32 v71, v18, 3, 0
	ds_write2_b64 v36, v[79:80], v[20:21] offset1:2
	ds_write2_b64 v37, v[59:60], v[22:23] offset1:2
	ds_write2_b64 v104, v[61:62], v[24:25] offset1:2
	ds_write2_b64 v105, v[63:64], v[26:27] offset1:2
	ds_write2_b64 v114, v[65:66], v[28:29] offset1:2
	ds_write2_b64 v115, v[67:68], v[30:31] offset1:2
	ds_write2_b64 v116, v[69:70], v[32:33] offset1:2
	ds_write2_b64 v71, v[81:82], v[96:97] offset1:2
	s_waitcnt lgkmcnt(0)
	; wave barrier
	s_waitcnt lgkmcnt(0)
	ds_read_b64 v[59:60], v110
	ds_read2_b64 v[18:21], v111 offset0:120 offset1:176
	ds_read_b64 v[61:62], v7
	ds_read2_b64 v[22:25], v112 offset0:104 offset1:160
	ds_read2_b64 v[26:29], v11 offset0:88 offset1:144
	ds_read_b64 v[63:64], v8
	ds_read_b64 v[65:66], v9
	;; [unrolled: 1-line block ×4, first 2 shown]
	ds_read2_b64 v[30:33], v113 offset0:72 offset1:128
	ds_read_b64 v[79:80], v16
	ds_read_b64 v[81:82], v17
	ds_read_b64 v[96:97], v57
	ds_read_b64 v[102:103], v110 offset:7616
	s_waitcnt lgkmcnt(0)
	; wave barrier
	s_waitcnt lgkmcnt(0)
	ds_write2_b64 v83, v[54:55], v[38:39] offset1:2
	ds_write2_b64 v36, v[84:85], v[40:41] offset1:2
	;; [unrolled: 1-line block ×9, first 2 shown]
	v_and_b32_e32 v71, 3, v106
	v_lshlrev_b32_e32 v34, 4, v71
	s_waitcnt lgkmcnt(0)
	; wave barrier
	s_waitcnt lgkmcnt(0)
	global_load_dwordx4 v[34:37], v34, s[8:9] offset:32
	ds_read_b64 v[54:55], v110
	ds_read2_b64 v[38:41], v111 offset0:120 offset1:176
	ds_read_b64 v[83:84], v7
	ds_read2_b64 v[42:45], v112 offset0:104 offset1:160
	ds_read2_b64 v[46:49], v11 offset0:88 offset1:144
	ds_read_b64 v[85:86], v8
	ds_read_b64 v[87:88], v9
	ds_read_b64 v[89:90], v10
	ds_read_b64 v[91:92], v12
	ds_read2_b64 v[50:53], v113 offset0:72 offset1:128
	ds_read_b64 v[114:115], v16
	ds_read_b64 v[116:117], v17
	;; [unrolled: 1-line block ×3, first 2 shown]
	ds_read_b64 v[120:121], v110 offset:7616
	s_movk_i32 s0, 0x78
	s_waitcnt lgkmcnt(0)
	; wave barrier
	s_waitcnt lgkmcnt(0)
	s_movk_i32 s1, 0x2f8
	s_waitcnt vmcnt(0)
	v_mul_f64 v[93:94], v[38:39], v[36:37]
	v_mul_f64 v[100:101], v[40:41], v[36:37]
	;; [unrolled: 1-line block ×8, first 2 shown]
	v_fma_f64 v[18:19], v[18:19], v[34:35], v[93:94]
	v_fma_f64 v[20:21], v[20:21], v[34:35], v[100:101]
	v_mul_f64 v[93:94], v[42:43], v[36:37]
	v_mul_f64 v[100:101], v[44:45], v[36:37]
	v_fma_f64 v[40:41], v[40:41], v[34:35], -v[104:105]
	v_mul_f64 v[104:105], v[24:25], v[36:37]
	v_fma_f64 v[38:39], v[38:39], v[34:35], -v[98:99]
	v_mul_f64 v[98:99], v[22:23], v[36:37]
	v_fma_f64 v[26:27], v[26:27], v[34:35], v[122:123]
	v_mul_f64 v[122:123], v[120:121], v[36:37]
	v_fma_f64 v[22:23], v[22:23], v[34:35], v[93:94]
	v_fma_f64 v[24:25], v[24:25], v[34:35], v[100:101]
	v_mul_f64 v[93:94], v[50:51], v[36:37]
	v_mul_f64 v[100:101], v[52:53], v[36:37]
	v_fma_f64 v[44:45], v[44:45], v[34:35], -v[104:105]
	v_mul_f64 v[104:105], v[32:33], v[36:37]
	v_fma_f64 v[42:43], v[42:43], v[34:35], -v[98:99]
	v_mul_f64 v[98:99], v[30:31], v[36:37]
	v_mul_f64 v[36:37], v[102:103], v[36:37]
	v_add_f64 v[18:19], v[59:60], -v[18:19]
	v_fma_f64 v[28:29], v[28:29], v[34:35], v[126:127]
	v_fma_f64 v[30:31], v[30:31], v[34:35], v[93:94]
	;; [unrolled: 1-line block ×4, first 2 shown]
	v_fma_f64 v[46:47], v[46:47], v[34:35], -v[124:125]
	v_fma_f64 v[52:53], v[52:53], v[34:35], -v[104:105]
	;; [unrolled: 1-line block ×5, first 2 shown]
	v_fma_f64 v[36:37], v[59:60], 2.0, -v[18:19]
	v_add_f64 v[38:39], v[54:55], -v[38:39]
	v_add_f64 v[20:21], v[96:97], -v[20:21]
	;; [unrolled: 1-line block ×15, first 2 shown]
	v_and_or_b32 v101, v15, s0, v71
	v_add_f64 v[50:51], v[91:92], -v[50:51]
	v_add_f64 v[34:35], v[116:117], -v[34:35]
	v_lshl_add_u32 v103, v101, 3, 0
	s_movk_i32 s0, 0xf8
	ds_write2_b64 v103, v[36:37], v[18:19] offset1:4
	v_and_or_b32 v18, v14, s0, v71
	s_movk_i32 s0, 0x1f8
	v_fma_f64 v[54:55], v[54:55], 2.0, -v[38:39]
	v_fma_f64 v[59:60], v[96:97], 2.0, -v[20:21]
	;; [unrolled: 1-line block ×9, first 2 shown]
	v_lshl_add_u32 v36, v18, 3, 0
	v_and_or_b32 v18, v13, s0, v71
	v_fma_f64 v[95:96], v[118:119], 2.0, -v[40:41]
	v_lshl_add_u32 v37, v18, 3, 0
	v_and_or_b32 v18, v5, s0, v71
	s_movk_i32 s0, 0x3f8
	v_fma_f64 v[83:84], v[83:84], 2.0, -v[42:43]
	v_lshl_add_u32 v104, v18, 3, 0
	v_and_or_b32 v18, v4, s0, v71
	v_fma_f64 v[85:86], v[85:86], 2.0, -v[44:45]
	v_lshl_add_u32 v105, v18, 3, 0
	v_and_or_b32 v18, v3, s1, v71
	v_fma_f64 v[87:88], v[87:88], 2.0, -v[46:47]
	v_fma_f64 v[97:98], v[114:115], 2.0, -v[52:53]
	v_lshl_add_u32 v114, v18, 3, 0
	v_and_or_b32 v18, v2, s0, v71
	v_fma_f64 v[89:90], v[89:90], 2.0, -v[48:49]
	v_lshl_add_u32 v115, v18, 3, 0
	v_and_or_b32 v18, v1, s0, v71
	v_fma_f64 v[91:92], v[91:92], 2.0, -v[50:51]
	v_fma_f64 v[99:100], v[116:117], 2.0, -v[34:35]
	v_lshl_add_u32 v116, v18, 3, 0
	v_and_or_b32 v18, v0, s0, v71
	v_lshl_add_u32 v71, v18, 3, 0
	ds_write2_b64 v36, v[59:60], v[20:21] offset1:4
	ds_write2_b64 v37, v[61:62], v[22:23] offset1:4
	;; [unrolled: 1-line block ×8, first 2 shown]
	s_waitcnt lgkmcnt(0)
	; wave barrier
	s_waitcnt lgkmcnt(0)
	ds_read_b64 v[59:60], v110
	ds_read2_b64 v[18:21], v111 offset0:120 offset1:176
	ds_read_b64 v[61:62], v7
	ds_read2_b64 v[22:25], v112 offset0:104 offset1:160
	ds_read2_b64 v[26:29], v11 offset0:88 offset1:144
	ds_read_b64 v[63:64], v8
	ds_read_b64 v[65:66], v9
	;; [unrolled: 1-line block ×4, first 2 shown]
	ds_read2_b64 v[30:33], v113 offset0:72 offset1:128
	ds_read_b64 v[79:80], v16
	ds_read_b64 v[81:82], v17
	;; [unrolled: 1-line block ×3, first 2 shown]
	ds_read_b64 v[101:102], v110 offset:7616
	s_waitcnt lgkmcnt(0)
	; wave barrier
	s_waitcnt lgkmcnt(0)
	ds_write2_b64 v103, v[54:55], v[38:39] offset1:4
	ds_write2_b64 v36, v[95:96], v[40:41] offset1:4
	;; [unrolled: 1-line block ×9, first 2 shown]
	v_and_b32_e32 v71, 7, v106
	v_lshlrev_b32_e32 v34, 4, v71
	s_waitcnt lgkmcnt(0)
	; wave barrier
	s_waitcnt lgkmcnt(0)
	global_load_dwordx4 v[34:37], v34, s[8:9] offset:96
	ds_read_b64 v[54:55], v110
	ds_read2_b64 v[38:41], v111 offset0:120 offset1:176
	ds_read_b64 v[83:84], v7
	ds_read2_b64 v[42:45], v112 offset0:104 offset1:160
	ds_read2_b64 v[46:49], v11 offset0:88 offset1:144
	ds_read_b64 v[85:86], v8
	ds_read_b64 v[87:88], v9
	;; [unrolled: 1-line block ×4, first 2 shown]
	ds_read2_b64 v[50:53], v113 offset0:72 offset1:128
	ds_read_b64 v[114:115], v16
	ds_read_b64 v[16:17], v17
	;; [unrolled: 1-line block ×3, first 2 shown]
	ds_read_b64 v[118:119], v110 offset:7616
	s_movk_i32 s0, 0x70
	v_and_or_b32 v15, v15, s0, v71
	s_movk_i32 s0, 0xf0
	v_and_or_b32 v14, v14, s0, v71
	;; [unrolled: 2-line block ×3, first 2 shown]
	v_and_or_b32 v5, v5, s0, v71
	s_movk_i32 s0, 0x3f0
	s_movk_i32 s1, 0x2f0
	v_lshl_add_u32 v15, v15, 3, 0
	v_lshl_add_u32 v14, v14, 3, 0
	;; [unrolled: 1-line block ×3, first 2 shown]
	v_and_or_b32 v4, v4, s0, v71
	v_and_or_b32 v3, v3, s1, v71
	;; [unrolled: 1-line block ×5, first 2 shown]
	s_waitcnt lgkmcnt(0)
	; wave barrier
	s_waitcnt lgkmcnt(0)
	v_cmp_gt_u32_e64 s[0:1], 48, v106
	s_waitcnt vmcnt(0)
	v_mul_f64 v[95:96], v[38:39], v[36:37]
	v_mul_f64 v[99:100], v[40:41], v[36:37]
	;; [unrolled: 1-line block ×8, first 2 shown]
	v_fma_f64 v[18:19], v[18:19], v[34:35], v[95:96]
	v_fma_f64 v[20:21], v[20:21], v[34:35], v[99:100]
	v_mul_f64 v[95:96], v[42:43], v[36:37]
	v_mul_f64 v[99:100], v[44:45], v[36:37]
	v_fma_f64 v[38:39], v[38:39], v[34:35], -v[97:98]
	v_mul_f64 v[97:98], v[22:23], v[36:37]
	v_fma_f64 v[40:41], v[40:41], v[34:35], -v[103:104]
	v_mul_f64 v[103:104], v[24:25], v[36:37]
	v_fma_f64 v[26:27], v[26:27], v[34:35], v[120:121]
	v_mul_f64 v[120:121], v[118:119], v[36:37]
	v_fma_f64 v[22:23], v[22:23], v[34:35], v[95:96]
	v_fma_f64 v[24:25], v[24:25], v[34:35], v[99:100]
	v_mul_f64 v[95:96], v[50:51], v[36:37]
	v_mul_f64 v[99:100], v[52:53], v[36:37]
	v_fma_f64 v[42:43], v[42:43], v[34:35], -v[97:98]
	v_mul_f64 v[97:98], v[30:31], v[36:37]
	v_fma_f64 v[44:45], v[44:45], v[34:35], -v[103:104]
	v_mul_f64 v[103:104], v[32:33], v[36:37]
	v_mul_f64 v[36:37], v[101:102], v[36:37]
	v_fma_f64 v[28:29], v[28:29], v[34:35], v[124:125]
	v_fma_f64 v[30:31], v[30:31], v[34:35], v[95:96]
	;; [unrolled: 1-line block ×4, first 2 shown]
	v_fma_f64 v[46:47], v[46:47], v[34:35], -v[122:123]
	v_fma_f64 v[48:49], v[48:49], v[34:35], -v[126:127]
	v_fma_f64 v[50:51], v[50:51], v[34:35], -v[97:98]
	v_add_f64 v[18:19], v[59:60], -v[18:19]
	v_fma_f64 v[52:53], v[52:53], v[34:35], -v[103:104]
	v_fma_f64 v[34:35], v[118:119], v[34:35], -v[36:37]
	v_add_f64 v[20:21], v[93:94], -v[20:21]
	v_add_f64 v[22:23], v[61:62], -v[22:23]
	;; [unrolled: 1-line block ×15, first 2 shown]
	v_fma_f64 v[36:37], v[59:60], 2.0, -v[18:19]
	v_fma_f64 v[59:60], v[93:94], 2.0, -v[20:21]
	;; [unrolled: 1-line block ×3, first 2 shown]
	v_add_f64 v[52:53], v[114:115], -v[52:53]
	v_add_f64 v[97:98], v[16:17], -v[34:35]
	v_fma_f64 v[54:55], v[54:55], 2.0, -v[38:39]
	v_fma_f64 v[63:64], v[63:64], 2.0, -v[24:25]
	;; [unrolled: 1-line block ×15, first 2 shown]
	ds_write2_b64 v15, v[36:37], v[18:19] offset1:8
	ds_write2_b64 v14, v[59:60], v[20:21] offset1:8
	;; [unrolled: 1-line block ×3, first 2 shown]
	v_lshl_add_u32 v16, v5, 3, 0
	v_lshl_add_u32 v37, v4, 3, 0
	;; [unrolled: 1-line block ×6, first 2 shown]
	v_add_u32_e32 v114, 0x800, v110
	ds_write2_b64 v16, v[63:64], v[24:25] offset1:8
	ds_write2_b64 v37, v[65:66], v[26:27] offset1:8
	ds_write2_b64 v59, v[34:35], v[28:29] offset1:8
	ds_write2_b64 v60, v[69:70], v[30:31] offset1:8
	ds_write2_b64 v61, v[79:80], v[32:33] offset1:8
	ds_write2_b64 v62, v[81:82], v[95:96] offset1:8
	s_waitcnt lgkmcnt(0)
	; wave barrier
	s_waitcnt lgkmcnt(0)
	ds_read_b64 v[103:104], v110
	ds_read2_b64 v[17:20], v112 offset0:104 offset1:160
	ds_read2_b64 v[21:24], v114 offset0:136 offset1:192
	ds_read2_b64 v[25:28], v11 offset0:88 offset1:144
	ds_read_b64 v[115:116], v7
	ds_read2_b64 v[29:32], v111 offset0:120 offset1:176
	ds_read2_b64 v[33:36], v113 offset0:72 offset1:128
	ds_read_b64 v[4:5], v8
	ds_read_b64 v[2:3], v9
	;; [unrolled: 1-line block ×5, first 2 shown]
	ds_read_b64 v[121:122], v110 offset:7616
	s_waitcnt lgkmcnt(0)
	; wave barrier
	s_waitcnt lgkmcnt(0)
	ds_write2_b64 v15, v[54:55], v[38:39] offset1:8
	ds_write2_b64 v14, v[93:94], v[40:41] offset1:8
	;; [unrolled: 1-line block ×9, first 2 shown]
	v_and_b32_e32 v13, 15, v106
	v_lshlrev_b32_e32 v14, 5, v13
	s_waitcnt lgkmcnt(0)
	; wave barrier
	s_waitcnt lgkmcnt(0)
	global_load_dwordx4 v[37:40], v14, s[8:9] offset:224
	global_load_dwordx4 v[41:44], v14, s[8:9] offset:240
	v_and_b32_e32 v14, 15, v108
	v_lshlrev_b32_e32 v15, 5, v14
	global_load_dwordx4 v[45:48], v15, s[8:9] offset:224
	global_load_dwordx4 v[49:52], v15, s[8:9] offset:240
	v_and_b32_e32 v15, 15, v76
	v_lshlrev_b32_e32 v16, 5, v15
	;; [unrolled: 4-line block ×3, first 2 shown]
	global_load_dwordx4 v[67:70], v53, s[8:9] offset:224
	global_load_dwordx4 v[79:82], v53, s[8:9] offset:240
	ds_read_b64 v[53:54], v110
	ds_read_b64 v[123:124], v12
	ds_read2_b64 v[83:86], v112 offset0:104 offset1:160
	ds_read2_b64 v[87:90], v114 offset0:136 offset1:192
	ds_read2_b64 v[91:94], v11 offset0:88 offset1:144
	ds_read_b64 v[125:126], v8
	ds_read_b64 v[127:128], v9
	;; [unrolled: 1-line block ×4, first 2 shown]
	ds_read2_b64 v[95:98], v111 offset0:120 offset1:176
	ds_read2_b64 v[99:102], v113 offset0:72 offset1:128
	ds_read_b64 v[139:140], v57
	ds_read_b64 v[141:142], v110 offset:7616
	s_waitcnt lgkmcnt(0)
	; wave barrier
	s_waitcnt vmcnt(7) lgkmcnt(0)
	v_mul_f64 v[131:132], v[123:124], v[39:40]
	v_mul_f64 v[135:136], v[117:118], v[39:40]
	s_waitcnt vmcnt(6)
	v_mul_f64 v[137:138], v[85:86], v[43:44]
	v_mul_f64 v[143:144], v[89:90], v[39:40]
	v_fma_f64 v[117:118], v[117:118], v[37:38], v[131:132]
	v_mul_f64 v[131:132], v[19:20], v[43:44]
	v_fma_f64 v[123:124], v[123:124], v[37:38], -v[135:136]
	s_waitcnt vmcnt(5)
	v_mul_f64 v[135:136], v[87:88], v[47:48]
	v_mul_f64 v[47:48], v[21:22], v[47:48]
	v_fma_f64 v[19:20], v[19:20], v[41:42], v[137:138]
	s_waitcnt vmcnt(4)
	v_mul_f64 v[137:138], v[91:92], v[51:52]
	v_mul_f64 v[51:52], v[25:26], v[51:52]
	v_fma_f64 v[85:86], v[85:86], v[41:42], -v[131:132]
	v_mul_f64 v[131:132], v[23:24], v[39:40]
	v_fma_f64 v[21:22], v[21:22], v[45:46], v[135:136]
	v_fma_f64 v[45:46], v[87:88], v[45:46], -v[47:48]
	v_mul_f64 v[47:48], v[93:94], v[43:44]
	v_fma_f64 v[25:26], v[25:26], v[49:50], v[137:138]
	v_fma_f64 v[49:50], v[91:92], v[49:50], -v[51:52]
	v_mul_f64 v[91:92], v[97:98], v[39:40]
	v_mul_f64 v[39:40], v[31:32], v[39:40]
	v_fma_f64 v[87:88], v[89:90], v[37:38], -v[131:132]
	s_waitcnt vmcnt(3)
	v_mul_f64 v[89:90], v[95:96], v[61:62]
	v_mul_f64 v[61:62], v[29:30], v[61:62]
	v_fma_f64 v[23:24], v[23:24], v[37:38], v[143:144]
	v_mul_f64 v[51:52], v[27:28], v[43:44]
	v_fma_f64 v[27:28], v[27:28], v[41:42], v[47:48]
	s_waitcnt vmcnt(2)
	v_mul_f64 v[47:48], v[99:100], v[65:66]
	v_mul_f64 v[65:66], v[33:34], v[65:66]
	v_fma_f64 v[31:32], v[31:32], v[37:38], v[91:92]
	v_fma_f64 v[29:30], v[29:30], v[59:60], v[89:90]
	v_fma_f64 v[59:60], v[95:96], v[59:60], -v[61:62]
	v_mul_f64 v[61:62], v[101:102], v[43:44]
	v_mul_f64 v[43:44], v[35:36], v[43:44]
	v_fma_f64 v[37:38], v[97:98], v[37:38], -v[39:40]
	s_waitcnt vmcnt(1)
	v_mul_f64 v[39:40], v[83:84], v[69:70]
	v_fma_f64 v[51:52], v[93:94], v[41:42], -v[51:52]
	v_fma_f64 v[33:34], v[33:34], v[63:64], v[47:48]
	v_fma_f64 v[47:48], v[99:100], v[63:64], -v[65:66]
	v_add_f64 v[63:64], v[117:118], v[19:20]
	v_fma_f64 v[35:36], v[35:36], v[41:42], v[61:62]
	v_mul_f64 v[61:62], v[17:18], v[69:70]
	s_waitcnt vmcnt(0)
	v_mul_f64 v[69:70], v[121:122], v[81:82]
	v_fma_f64 v[41:42], v[101:102], v[41:42], -v[43:44]
	v_add_f64 v[43:44], v[103:104], v[117:118]
	v_fma_f64 v[17:18], v[17:18], v[67:68], v[39:40]
	v_mul_f64 v[65:66], v[141:142], v[81:82]
	v_fma_f64 v[39:40], v[63:64], -0.5, v[103:104]
	v_add_f64 v[63:64], v[123:124], -v[85:86]
	v_fma_f64 v[61:62], v[83:84], v[67:68], -v[61:62]
	v_fma_f64 v[67:68], v[141:142], v[79:80], -v[69:70]
	v_add_f64 v[69:70], v[123:124], v[85:86]
	v_add_f64 v[43:44], v[43:44], v[19:20]
	;; [unrolled: 1-line block ×4, first 2 shown]
	v_add_f64 v[19:20], v[117:118], -v[19:20]
	v_fma_f64 v[65:66], v[121:122], v[79:80], v[65:66]
	v_fma_f64 v[79:80], v[63:64], s[6:7], v[39:40]
	;; [unrolled: 1-line block ×3, first 2 shown]
	v_fma_f64 v[53:54], v[69:70], -0.5, v[53:54]
	v_add_f64 v[63:64], v[119:120], v[21:22]
	v_add_f64 v[69:70], v[81:82], v[85:86]
	;; [unrolled: 1-line block ×3, first 2 shown]
	v_fma_f64 v[83:84], v[83:84], -0.5, v[119:120]
	v_add_f64 v[85:86], v[45:46], -v[49:50]
	v_add_f64 v[21:22], v[21:22], -v[25:26]
	v_add_f64 v[97:98], v[31:32], v[35:36]
	v_fma_f64 v[89:90], v[19:20], s[10:11], v[53:54]
	v_fma_f64 v[91:92], v[19:20], s[6:7], v[53:54]
	v_add_f64 v[19:20], v[139:140], v[45:46]
	v_add_f64 v[53:54], v[23:24], v[27:28]
	;; [unrolled: 1-line block ×3, first 2 shown]
	v_fma_f64 v[63:64], v[81:82], -0.5, v[139:140]
	v_fma_f64 v[25:26], v[85:86], s[6:7], v[83:84]
	v_fma_f64 v[81:82], v[85:86], s[10:11], v[83:84]
	v_add_f64 v[83:84], v[115:116], v[23:24]
	v_add_f64 v[23:24], v[23:24], -v[27:28]
	v_add_f64 v[85:86], v[19:20], v[49:50]
	v_add_f64 v[19:20], v[87:88], v[51:52]
	v_fma_f64 v[49:50], v[53:54], -0.5, v[115:116]
	v_add_f64 v[53:54], v[87:88], -v[51:52]
	v_add_f64 v[87:88], v[133:134], v[87:88]
	v_fma_f64 v[93:94], v[21:22], s[10:11], v[63:64]
	v_fma_f64 v[63:64], v[21:22], s[6:7], v[63:64]
	v_add_f64 v[21:22], v[83:84], v[27:28]
	v_add_f64 v[83:84], v[29:30], v[33:34]
	v_fma_f64 v[19:20], v[19:20], -0.5, v[133:134]
	v_sub_u32_e32 v115, 0, v6
	v_fma_f64 v[27:28], v[53:54], s[6:7], v[49:50]
	v_add_f64 v[87:88], v[87:88], v[51:52]
	v_add_f64 v[51:52], v[59:60], v[47:48]
	v_fma_f64 v[49:50], v[53:54], s[10:11], v[49:50]
	v_add_f64 v[53:54], v[4:5], v[29:30]
	v_fma_f64 v[4:5], v[83:84], -0.5, v[4:5]
	v_add_f64 v[83:84], v[59:60], -v[47:48]
	v_fma_f64 v[95:96], v[23:24], s[10:11], v[19:20]
	v_fma_f64 v[23:24], v[23:24], s[6:7], v[19:20]
	v_add_f64 v[19:20], v[125:126], v[59:60]
	v_fma_f64 v[51:52], v[51:52], -0.5, v[125:126]
	v_add_f64 v[29:30], v[29:30], -v[33:34]
	v_add_f64 v[59:60], v[2:3], v[31:32]
	v_fma_f64 v[2:3], v[97:98], -0.5, v[2:3]
	v_add_f64 v[97:98], v[37:38], -v[41:42]
	v_add_f64 v[33:34], v[53:54], v[33:34]
	v_fma_f64 v[53:54], v[83:84], s[6:7], v[4:5]
	v_fma_f64 v[4:5], v[83:84], s[10:11], v[4:5]
	v_add_f64 v[83:84], v[19:20], v[47:48]
	v_fma_f64 v[99:100], v[29:30], s[10:11], v[51:52]
	v_add_f64 v[19:20], v[37:38], v[41:42]
	;; [unrolled: 2-line block ×3, first 2 shown]
	v_add_f64 v[51:52], v[17:18], v[65:66]
	v_fma_f64 v[59:60], v[97:98], s[6:7], v[2:3]
	v_fma_f64 v[2:3], v[97:98], s[10:11], v[2:3]
	v_add_f64 v[97:98], v[61:62], v[67:68]
	v_add_f64 v[31:32], v[31:32], -v[35:36]
	v_fma_f64 v[19:20], v[19:20], -0.5, v[127:128]
	v_add_f64 v[35:36], v[0:1], v[17:18]
	v_add_f64 v[17:18], v[17:18], -v[65:66]
	v_fma_f64 v[0:1], v[51:52], -0.5, v[0:1]
	v_add_f64 v[51:52], v[61:62], -v[67:68]
	v_add_f64 v[61:62], v[129:130], v[61:62]
	v_fma_f64 v[97:98], v[97:98], -0.5, v[129:130]
	v_add_f64 v[37:38], v[127:128], v[37:38]
	v_fma_f64 v[101:102], v[31:32], s[10:11], v[19:20]
	v_fma_f64 v[31:32], v[31:32], s[6:7], v[19:20]
	v_add_f64 v[19:20], v[35:36], v[65:66]
	v_fma_f64 v[35:36], v[51:52], s[6:7], v[0:1]
	v_add_f64 v[61:62], v[61:62], v[67:68]
	v_fma_f64 v[65:66], v[17:18], s[10:11], v[97:98]
	v_fma_f64 v[67:68], v[17:18], s[6:7], v[97:98]
	v_lshrrev_b32_e32 v17, 4, v106
	v_mul_u32_u24_e32 v17, 48, v17
	v_or_b32_e32 v17, v17, v13
	v_lshrrev_b32_e32 v18, 4, v108
	v_add_f64 v[41:42], v[37:38], v[41:42]
	v_mul_lo_u32 v18, v18, 48
	v_lshl_add_u32 v38, v17, 3, 0
	v_lshrrev_b32_e32 v17, 4, v107
	v_mul_lo_u32 v17, v17, 48
	v_or_b32_e32 v14, v18, v14
	ds_write2_b64 v38, v[43:44], v[79:80] offset1:16
	ds_write_b64 v38, v[39:40] offset:256
	v_lshl_add_u32 v39, v14, 3, 0
	v_or_b32_e32 v14, v17, v13
	v_lshrrev_b32_e32 v17, 4, v76
	v_mul_lo_u32 v17, v17, 48
	ds_write2_b64 v39, v[45:46], v[25:26] offset1:16
	ds_write_b64 v39, v[81:82] offset:256
	v_lshl_add_u32 v25, v14, 3, 0
	ds_write2_b64 v25, v[21:22], v[27:28] offset1:16
	ds_write_b64 v25, v[49:50] offset:256
	v_or_b32_e32 v14, v17, v15
	v_lshrrev_b32_e32 v15, 4, v77
	v_mul_lo_u32 v15, v15, 48
	v_lshl_add_u32 v22, v14, 3, 0
	v_fma_f64 v[0:1], v[51:52], s[10:11], v[0:1]
	ds_write2_b64 v22, v[33:34], v[53:54] offset1:16
	ds_write_b64 v22, v[4:5] offset:256
	v_lshrrev_b32_e32 v5, 4, v78
	v_mul_lo_u32 v5, v5, 48
	v_or_b32_e32 v4, v15, v13
	v_lshl_add_u32 v13, v4, 3, 0
	ds_write2_b64 v13, v[47:48], v[59:60] offset1:16
	ds_write_b64 v13, v[2:3] offset:256
	v_or_b32_e32 v2, v5, v16
	v_lshl_add_u32 v26, v2, 3, 0
	ds_write2_b64 v26, v[19:20], v[35:36] offset1:16
	ds_write_b64 v26, v[0:1] offset:256
	s_waitcnt lgkmcnt(0)
	; wave barrier
	s_waitcnt lgkmcnt(0)
	ds_read_b64 v[144:145], v110
	ds_read2_b64 v[14:17], v112 offset0:104 offset1:160
	ds_read2_b64 v[18:21], v114 offset0:136 offset1:192
	;; [unrolled: 1-line block ×3, first 2 shown]
	ds_read_b64 v[146:147], v7
	ds_read2_b64 v[48:51], v111 offset0:120 offset1:176
	ds_read2_b64 v[52:55], v113 offset0:72 offset1:128
	ds_read_b64 v[4:5], v8
	ds_read_b64 v[2:3], v9
	;; [unrolled: 1-line block ×5, first 2 shown]
	ds_read_b64 v[152:153], v110 offset:7616
	s_waitcnt lgkmcnt(0)
	; wave barrier
	s_waitcnt lgkmcnt(0)
	ds_write2_b64 v38, v[69:70], v[89:90] offset1:16
	ds_write_b64 v38, v[91:92] offset:256
	ds_write2_b64 v39, v[85:86], v[93:94] offset1:16
	ds_write_b64 v39, v[63:64] offset:256
	;; [unrolled: 2-line block ×6, first 2 shown]
	v_subrev_u32_e32 v13, 48, v106
	v_cndmask_b32_e64 v13, v13, v106, s[0:1]
	v_lshlrev_b32_e32 v22, 1, v13
	v_mov_b32_e32 v23, 0
	v_lshlrev_b64 v[22:23], 4, v[22:23]
	v_mov_b32_e32 v24, s9
	v_add_co_u32_e64 v22, s[0:1], s8, v22
	v_addc_co_u32_e64 v23, s[0:1], v24, v23, s[0:1]
	s_waitcnt lgkmcnt(0)
	; wave barrier
	s_waitcnt lgkmcnt(0)
	global_load_dwordx4 v[38:41], v[22:23], off offset:752
	global_load_dwordx4 v[44:47], v[22:23], off offset:736
	s_movk_i32 s0, 0xab
	v_mul_lo_u16_sdwa v22, v108, s0 dst_sel:DWORD dst_unused:UNUSED_PAD src0_sel:BYTE_0 src1_sel:DWORD
	v_lshrrev_b16_e32 v156, 13, v22
	v_mul_lo_u16_e32 v22, 48, v156
	v_sub_u16_e32 v157, v108, v22
	v_mov_b32_e32 v22, 5
	v_lshlrev_b32_sdwa v23, v22, v157 dst_sel:DWORD dst_unused:UNUSED_PAD src0_sel:DWORD src1_sel:BYTE_0
	global_load_dwordx4 v[59:62], v23, s[8:9] offset:736
	global_load_dwordx4 v[80:83], v23, s[8:9] offset:752
	v_mul_lo_u16_sdwa v23, v107, s0 dst_sel:DWORD dst_unused:UNUSED_PAD src0_sel:BYTE_0 src1_sel:DWORD
	v_lshrrev_b16_e32 v158, 13, v23
	v_mul_lo_u16_e32 v23, 48, v158
	v_sub_u16_e32 v159, v107, v23
	v_lshlrev_b32_sdwa v23, v22, v159 dst_sel:DWORD dst_unused:UNUSED_PAD src0_sel:DWORD src1_sel:BYTE_0
	global_load_dwordx4 v[84:87], v23, s[8:9] offset:736
	global_load_dwordx4 v[90:93], v23, s[8:9] offset:752
	v_mul_lo_u16_sdwa v23, v76, s0 dst_sel:DWORD dst_unused:UNUSED_PAD src0_sel:BYTE_0 src1_sel:DWORD
	v_lshrrev_b16_e32 v160, 13, v23
	v_mul_lo_u16_e32 v23, 48, v160
	v_sub_u16_e32 v161, v76, v23
	v_lshlrev_b32_sdwa v22, v22, v161 dst_sel:DWORD dst_unused:UNUSED_PAD src0_sel:DWORD src1_sel:BYTE_0
	global_load_dwordx4 v[94:97], v22, s[8:9] offset:736
	global_load_dwordx4 v[98:101], v22, s[8:9] offset:752
	s_mov_b32 s0, 0xaaab
	v_mul_u32_u24_sdwa v22, v77, s0 dst_sel:DWORD dst_unused:UNUSED_PAD src0_sel:WORD_0 src1_sel:DWORD
	v_lshrrev_b32_e32 v162, 21, v22
	v_mul_lo_u16_e32 v22, 48, v162
	v_sub_u16_e32 v163, v77, v22
	v_lshlrev_b32_e32 v22, 5, v163
	global_load_dwordx4 v[102:105], v22, s[8:9] offset:736
	global_load_dwordx4 v[116:119], v22, s[8:9] offset:752
	v_mul_u32_u24_sdwa v22, v78, s0 dst_sel:DWORD dst_unused:UNUSED_PAD src0_sel:WORD_0 src1_sel:DWORD
	v_lshrrev_b32_e32 v164, 21, v22
	v_mul_lo_u16_e32 v22, 48, v164
	v_sub_u16_e32 v165, v78, v22
	v_lshlrev_b32_e32 v22, 5, v165
	global_load_dwordx4 v[120:123], v22, s[8:9] offset:736
	global_load_dwordx4 v[124:127], v22, s[8:9] offset:752
	ds_read_b64 v[32:33], v110
	ds_read_b64 v[22:23], v12
	ds_read2_b64 v[128:131], v112 offset0:104 offset1:160
	ds_read2_b64 v[132:135], v114 offset0:136 offset1:192
	;; [unrolled: 1-line block ×3, first 2 shown]
	ds_read_b64 v[30:31], v7
	ds_read2_b64 v[140:143], v111 offset0:120 offset1:176
	ds_read_b64 v[28:29], v8
	ds_read_b64 v[26:27], v9
	;; [unrolled: 1-line block ×3, first 2 shown]
	ds_read2_b64 v[6:9], v113 offset0:72 offset1:128
	ds_read_b64 v[42:43], v57
	ds_read_b64 v[154:155], v110 offset:7616
	v_cmp_lt_u32_e64 s[0:1], 47, v106
	s_waitcnt lgkmcnt(0)
	; wave barrier
	s_waitcnt vmcnt(11) lgkmcnt(0)
	v_mul_f64 v[63:64], v[130:131], v[40:41]
	s_waitcnt vmcnt(10)
	v_mul_f64 v[10:11], v[22:23], v[46:47]
	v_mul_f64 v[46:47], v[148:149], v[46:47]
	;; [unrolled: 1-line block ×3, first 2 shown]
	s_waitcnt vmcnt(9)
	v_mul_f64 v[68:69], v[132:133], v[61:62]
	v_fma_f64 v[66:67], v[148:149], v[44:45], v[10:11]
	v_mul_f64 v[10:11], v[18:19], v[61:62]
	v_fma_f64 v[76:77], v[22:23], v[44:45], -v[46:47]
	v_fma_f64 v[78:79], v[16:17], v[38:39], v[63:64]
	s_waitcnt vmcnt(8)
	v_mul_f64 v[16:17], v[136:137], v[82:83]
	v_mul_f64 v[22:23], v[34:35], v[82:83]
	v_fma_f64 v[44:45], v[130:131], v[38:39], -v[40:41]
	v_fma_f64 v[62:63], v[18:19], v[59:60], v[68:69]
	s_waitcnt vmcnt(7)
	v_mul_f64 v[18:19], v[134:135], v[86:87]
	v_fma_f64 v[88:89], v[132:133], v[59:60], -v[10:11]
	v_mul_f64 v[10:11], v[20:21], v[86:87]
	s_waitcnt vmcnt(6)
	v_mul_f64 v[38:39], v[138:139], v[92:93]
	v_fma_f64 v[68:69], v[34:35], v[80:81], v[16:17]
	v_mul_f64 v[16:17], v[36:37], v[92:93]
	v_fma_f64 v[64:65], v[136:137], v[80:81], -v[22:23]
	s_waitcnt vmcnt(5)
	v_mul_f64 v[22:23], v[140:141], v[96:97]
	v_fma_f64 v[70:71], v[20:21], v[84:85], v[18:19]
	v_mul_f64 v[18:19], v[48:49], v[96:97]
	v_fma_f64 v[86:87], v[134:135], v[84:85], -v[10:11]
	s_waitcnt vmcnt(4)
	v_mul_f64 v[10:11], v[6:7], v[100:101]
	v_fma_f64 v[80:81], v[36:37], v[90:91], v[38:39]
	v_fma_f64 v[46:47], v[138:139], v[90:91], -v[16:17]
	v_mul_f64 v[16:17], v[52:53], v[100:101]
	v_fma_f64 v[34:35], v[48:49], v[94:95], v[22:23]
	s_waitcnt vmcnt(3)
	v_mul_f64 v[20:21], v[142:143], v[104:105]
	v_fma_f64 v[38:39], v[140:141], v[94:95], -v[18:19]
	v_mul_f64 v[18:19], v[50:51], v[104:105]
	v_fma_f64 v[40:41], v[52:53], v[98:99], v[10:11]
	s_waitcnt vmcnt(2)
	v_mul_f64 v[10:11], v[54:55], v[118:119]
	v_mul_f64 v[22:23], v[8:9], v[118:119]
	v_fma_f64 v[36:37], v[6:7], v[98:99], -v[16:17]
	s_waitcnt vmcnt(1)
	v_mul_f64 v[6:7], v[128:129], v[122:123]
	v_fma_f64 v[90:91], v[50:51], v[102:103], v[20:21]
	v_mul_f64 v[16:17], v[14:15], v[122:123]
	v_fma_f64 v[94:95], v[142:143], v[102:103], -v[18:19]
	v_add_f64 v[18:19], v[66:67], v[78:79]
	v_fma_f64 v[96:97], v[8:9], v[116:117], -v[10:11]
	s_waitcnt vmcnt(0)
	v_mul_f64 v[8:9], v[154:155], v[126:127]
	v_add_f64 v[10:11], v[62:63], v[68:69]
	v_fma_f64 v[98:99], v[14:15], v[120:121], v[6:7]
	v_mul_f64 v[6:7], v[152:153], v[126:127]
	v_add_f64 v[50:51], v[86:87], -v[46:47]
	v_fma_f64 v[92:93], v[54:55], v[116:117], v[22:23]
	v_fma_f64 v[100:101], v[128:129], v[120:121], -v[16:17]
	v_fma_f64 v[16:17], v[18:19], -0.5, v[144:145]
	v_fma_f64 v[102:103], v[152:153], v[124:125], v[8:9]
	v_add_f64 v[8:9], v[70:71], v[80:81]
	v_add_f64 v[18:19], v[76:77], -v[44:45]
	v_fma_f64 v[10:11], v[10:11], -0.5, v[150:151]
	v_add_f64 v[20:21], v[88:89], -v[64:65]
	v_add_f64 v[48:49], v[146:147], v[70:71]
	v_add_f64 v[52:53], v[34:35], v[40:41]
	v_fma_f64 v[104:105], v[154:155], v[124:125], -v[6:7]
	v_add_f64 v[14:15], v[144:145], v[66:67]
	v_fma_f64 v[8:9], v[8:9], -0.5, v[146:147]
	v_fma_f64 v[22:23], v[18:19], s[6:7], v[16:17]
	v_fma_f64 v[16:17], v[18:19], s[10:11], v[16:17]
	;; [unrolled: 1-line block ×4, first 2 shown]
	v_add_f64 v[20:21], v[48:49], v[80:81]
	v_add_f64 v[48:49], v[90:91], v[92:93]
	;; [unrolled: 1-line block ×3, first 2 shown]
	v_fma_f64 v[59:60], v[50:51], s[6:7], v[8:9]
	v_fma_f64 v[8:9], v[50:51], s[10:11], v[8:9]
	v_add_f64 v[50:51], v[98:99], v[102:103]
	v_add_f64 v[54:55], v[4:5], v[34:35]
	v_fma_f64 v[4:5], v[52:53], -0.5, v[4:5]
	v_add_f64 v[52:53], v[38:39], -v[36:37]
	v_add_f64 v[84:85], v[0:1], v[98:99]
	v_add_f64 v[116:117], v[100:101], -v[104:105]
	v_add_f64 v[82:83], v[2:3], v[90:91]
	v_fma_f64 v[2:3], v[48:49], -0.5, v[2:3]
	v_fma_f64 v[0:1], v[50:51], -0.5, v[0:1]
	v_add_f64 v[48:49], v[94:95], -v[96:97]
	v_add_f64 v[14:15], v[14:15], v[78:79]
	v_add_f64 v[6:7], v[6:7], v[68:69]
	;; [unrolled: 1-line block ×3, first 2 shown]
	v_fma_f64 v[124:125], v[52:53], s[6:7], v[4:5]
	v_fma_f64 v[4:5], v[52:53], s[10:11], v[4:5]
	v_add_f64 v[82:83], v[82:83], v[92:93]
	v_fma_f64 v[52:53], v[116:117], s[6:7], v[0:1]
	v_fma_f64 v[54:55], v[116:117], s[10:11], v[0:1]
	v_mov_b32_e32 v0, 0x480
	v_fma_f64 v[126:127], v[48:49], s[6:7], v[2:3]
	v_add_f64 v[50:51], v[84:85], v[102:103]
	v_cndmask_b32_e64 v0, 0, v0, s[0:1]
	v_lshlrev_b32_e32 v1, 3, v13
	v_fma_f64 v[48:49], v[48:49], s[10:11], v[2:3]
	v_add3_u32 v116, 0, v0, v1
	v_mov_b32_e32 v1, 3
	v_mul_u32_u24_e32 v0, 0x480, v156
	v_lshlrev_b32_sdwa v2, v1, v157 dst_sel:DWORD dst_unused:UNUSED_PAD src0_sel:DWORD src1_sel:BYTE_0
	v_add3_u32 v119, 0, v0, v2
	v_mul_u32_u24_e32 v0, 0x480, v158
	v_lshlrev_b32_sdwa v2, v1, v159 dst_sel:DWORD dst_unused:UNUSED_PAD src0_sel:DWORD src1_sel:BYTE_0
	v_add3_u32 v120, 0, v0, v2
	;; [unrolled: 3-line block ×3, first 2 shown]
	v_mul_u32_u24_e32 v0, 0x480, v162
	v_lshlrev_b32_e32 v1, 3, v163
	ds_write2_b64 v116, v[14:15], v[22:23] offset1:48
	ds_write_b64 v116, v[16:17] offset:768
	ds_write2_b64 v119, v[6:7], v[18:19] offset1:48
	ds_write_b64 v119, v[10:11] offset:768
	;; [unrolled: 2-line block ×4, first 2 shown]
	v_add3_u32 v122, 0, v0, v1
	v_mul_u32_u24_e32 v0, 0x480, v164
	v_lshlrev_b32_e32 v1, 3, v165
	v_add3_u32 v123, 0, v0, v1
	v_add_u32_e32 v124, 0x400, v110
	ds_write2_b64 v122, v[82:83], v[126:127] offset1:48
	ds_write_b64 v122, v[48:49] offset:768
	ds_write2_b64 v123, v[50:51], v[52:53] offset1:48
	ds_write_b64 v123, v[54:55] offset:768
	s_waitcnt lgkmcnt(0)
	; wave barrier
	s_waitcnt lgkmcnt(0)
	ds_read2_b64 v[0:3], v110 offset1:144
	ds_read2_b64 v[16:19], v124 offset0:72 offset1:160
	ds_read2_b64 v[8:11], v114 offset0:88 offset1:176
	;; [unrolled: 1-line block ×5, first 2 shown]
	ds_read_b64 v[82:83], v57
	ds_read_b64 v[84:85], v110 offset:7360
	v_sub_u32_e32 v57, 0, v58
	v_cmp_gt_u32_e64 s[0:1], 32, v106
	v_add_u32_e32 v117, v56, v57
	v_lshl_add_u32 v118, v106, 3, 0
                                        ; implicit-def: $vgpr60_vgpr61
                                        ; implicit-def: $vgpr58_vgpr59
                                        ; implicit-def: $vgpr56_vgpr57
	s_and_saveexec_b64 s[12:13], s[0:1]
	s_cbranch_execz .LBB0_15
; %bb.14:
	ds_read_b64 v[52:53], v110 offset:3200
	ds_read_b64 v[56:57], v110 offset:5504
	;; [unrolled: 1-line block ×5, first 2 shown]
	ds_read_b64 v[48:49], v117
	ds_read_b64 v[60:61], v110 offset:7808
.LBB0_15:
	s_or_b64 exec, exec, s[12:13]
	v_add_f64 v[127:128], v[88:89], v[64:65]
	v_add_f64 v[125:126], v[76:77], v[44:45]
	v_add_f64 v[76:77], v[32:33], v[76:77]
	v_add_f64 v[66:67], v[66:67], -v[78:79]
	v_add_f64 v[78:79], v[42:43], v[88:89]
	v_add_f64 v[62:63], v[62:63], -v[68:69]
	v_add_f64 v[88:89], v[86:87], v[46:47]
	v_add_f64 v[70:71], v[70:71], -v[80:81]
	v_fma_f64 v[42:43], v[127:128], -0.5, v[42:43]
	v_fma_f64 v[32:33], v[125:126], -0.5, v[32:33]
	v_add_f64 v[44:45], v[76:77], v[44:45]
	v_add_f64 v[68:69], v[30:31], v[86:87]
	;; [unrolled: 1-line block ×4, first 2 shown]
	v_fma_f64 v[30:31], v[88:89], -0.5, v[30:31]
	v_add_f64 v[38:39], v[28:29], v[38:39]
	v_fma_f64 v[80:81], v[62:63], s[10:11], v[42:43]
	v_fma_f64 v[42:43], v[62:63], s[6:7], v[42:43]
	v_add_f64 v[62:63], v[94:95], v[96:97]
	v_fma_f64 v[78:79], v[66:67], s[10:11], v[32:33]
	v_fma_f64 v[32:33], v[66:67], s[6:7], v[32:33]
	v_add_f64 v[66:67], v[100:101], v[104:105]
	v_fma_f64 v[28:29], v[64:65], -0.5, v[28:29]
	v_add_f64 v[34:35], v[34:35], -v[40:41]
	v_add_f64 v[40:41], v[26:27], v[94:95]
	v_add_f64 v[64:65], v[24:25], v[100:101]
	v_fma_f64 v[26:27], v[62:63], -0.5, v[26:27]
	v_add_f64 v[62:63], v[90:91], -v[92:93]
	v_add_f64 v[46:47], v[68:69], v[46:47]
	v_fma_f64 v[24:25], v[66:67], -0.5, v[24:25]
	v_add_f64 v[66:67], v[98:99], -v[102:103]
	v_fma_f64 v[86:87], v[70:71], s[10:11], v[30:31]
	v_fma_f64 v[30:31], v[70:71], s[6:7], v[30:31]
	v_add_f64 v[36:37], v[38:39], v[36:37]
	v_fma_f64 v[38:39], v[34:35], s[10:11], v[28:29]
	v_fma_f64 v[28:29], v[34:35], s[6:7], v[28:29]
	v_add_f64 v[34:35], v[40:41], v[96:97]
	;; [unrolled: 3-line block ×3, first 2 shown]
	v_fma_f64 v[64:65], v[66:67], s[10:11], v[24:25]
	v_fma_f64 v[66:67], v[66:67], s[6:7], v[24:25]
	s_waitcnt lgkmcnt(0)
	; wave barrier
	s_waitcnt lgkmcnt(0)
	ds_write2_b64 v116, v[44:45], v[78:79] offset1:48
	ds_write_b64 v116, v[32:33] offset:768
	ds_write2_b64 v119, v[76:77], v[80:81] offset1:48
	ds_write_b64 v119, v[42:43] offset:768
	;; [unrolled: 2-line block ×6, first 2 shown]
	s_waitcnt lgkmcnt(0)
	; wave barrier
	s_waitcnt lgkmcnt(0)
	ds_read2_b64 v[24:27], v110 offset1:144
	ds_read2_b64 v[36:39], v124 offset0:72 offset1:160
	ds_read2_b64 v[28:31], v114 offset0:88 offset1:176
	;; [unrolled: 1-line block ×5, first 2 shown]
	v_add_u32_e32 v70, v109, v115
	ds_read_b64 v[86:87], v70
	ds_read_b64 v[88:89], v110 offset:7360
                                        ; implicit-def: $vgpr78_vgpr79
                                        ; implicit-def: $vgpr76_vgpr77
                                        ; implicit-def: $vgpr70_vgpr71
	s_and_saveexec_b64 s[6:7], s[0:1]
	s_cbranch_execz .LBB0_17
; %bb.16:
	ds_read_b64 v[64:65], v110 offset:3200
	ds_read_b64 v[70:71], v110 offset:5504
	;; [unrolled: 1-line block ×5, first 2 shown]
	ds_read_b64 v[62:63], v117
	ds_read_b64 v[78:79], v110 offset:7808
.LBB0_17:
	s_or_b64 exec, exec, s[6:7]
	s_and_saveexec_b64 s[6:7], vcc
	s_cbranch_execz .LBB0_20
; %bb.18:
	v_mul_i32_i24_e32 v80, 6, v108
	v_mov_b32_e32 v81, 0
	v_lshlrev_b64 v[116:117], 4, v[80:81]
	v_mov_b32_e32 v80, s9
	v_mul_u32_u24_e32 v90, 6, v106
	v_add_co_u32_e32 v136, vcc, s8, v116
	v_lshlrev_b32_e32 v118, 4, v90
	v_addc_co_u32_e32 v137, vcc, v80, v117, vcc
	global_load_dwordx4 v[90:93], v118, s[8:9] offset:2320
	global_load_dwordx4 v[94:97], v118, s[8:9] offset:2304
	global_load_dwordx4 v[98:101], v118, s[8:9] offset:2288
	global_load_dwordx4 v[102:105], v118, s[8:9] offset:2272
	global_load_dwordx4 v[108:111], v118, s[8:9] offset:2352
	global_load_dwordx4 v[112:115], v118, s[8:9] offset:2336
	s_nop 0
	global_load_dwordx4 v[116:119], v[136:137], off offset:2272
	global_load_dwordx4 v[120:123], v[136:137], off offset:2352
	;; [unrolled: 1-line block ×5, first 2 shown]
	s_nop 0
	global_load_dwordx4 v[136:139], v[136:137], off offset:2336
	v_mul_lo_u32 v80, s5, v74
	v_mul_lo_u32 v140, s4, v75
	v_mad_u64_u32 v[74:75], s[4:5], s4, v74, 0
	s_mov_b32 s22, 0xe976ee23
	s_mov_b32 s23, 0x3fe11646
	v_add3_u32 v75, v75, v140, v80
	s_mov_b32 s26, 0x37e14327
	s_mov_b32 s20, 0x36b3c0b5
	;; [unrolled: 1-line block ×19, first 2 shown]
	s_movk_i32 s28, 0x90
	s_waitcnt vmcnt(11) lgkmcnt(4)
	v_mul_f64 v[144:145], v[34:35], v[92:93]
	s_waitcnt vmcnt(5)
	v_mul_f64 v[152:153], v[36:37], v[118:119]
	s_waitcnt vmcnt(4) lgkmcnt(0)
	v_mul_f64 v[154:155], v[88:89], v[122:123]
	s_waitcnt vmcnt(3)
	v_mul_f64 v[156:157], v[40:41], v[126:127]
	s_waitcnt vmcnt(2)
	;; [unrolled: 2-line block ×4, first 2 shown]
	v_mul_f64 v[162:163], v[44:45], v[138:139]
	v_mul_f64 v[122:123], v[84:85], v[122:123]
	;; [unrolled: 1-line block ×8, first 2 shown]
	v_fma_f64 v[16:17], v[16:17], v[116:117], v[152:153]
	v_fma_f64 v[84:85], v[84:85], v[120:121], v[154:155]
	;; [unrolled: 1-line block ×6, first 2 shown]
	v_fma_f64 v[88:89], v[88:89], v[120:121], -v[122:123]
	v_fma_f64 v[36:37], v[36:37], v[116:117], -v[118:119]
	;; [unrolled: 1-line block ×6, first 2 shown]
	v_mul_f64 v[104:105], v[2:3], v[104:105]
	v_fma_f64 v[116:117], v[2:3], v[102:103], v[140:141]
	v_add_f64 v[2:3], v[16:17], -v[84:85]
	v_add_f64 v[118:119], v[20:21], -v[4:5]
	;; [unrolled: 1-line block ×3, first 2 shown]
	v_add_f64 v[16:17], v[16:17], v[84:85]
	v_add_f64 v[8:9], v[8:9], v[12:13]
	;; [unrolled: 1-line block ×6, first 2 shown]
	v_add_f64 v[12:13], v[36:37], -v[88:89]
	v_add_f64 v[20:21], v[40:41], -v[32:33]
	;; [unrolled: 1-line block ×5, first 2 shown]
	v_add_f64 v[40:41], v[118:119], v[120:121]
	v_add_f64 v[118:119], v[16:17], v[8:9]
	;; [unrolled: 1-line block ×3, first 2 shown]
	v_add_f64 v[84:85], v[122:123], -v[126:127]
	v_add_f64 v[128:129], v[16:17], -v[4:5]
	;; [unrolled: 1-line block ×5, first 2 shown]
	v_add_f64 v[20:21], v[20:21], v[28:29]
	v_add_f64 v[120:121], v[120:121], -v[2:3]
	v_add_f64 v[118:119], v[4:5], v[118:119]
	v_add_f64 v[88:89], v[126:127], -v[124:125]
	v_add_f64 v[8:9], v[8:9], -v[16:17]
	;; [unrolled: 1-line block ×3, first 2 shown]
	v_mul_f64 v[28:29], v[36:37], s[22:23]
	v_add_f64 v[36:37], v[2:3], v[40:41]
	v_add_f64 v[40:41], v[126:127], v[44:45]
	v_add_f64 v[122:123], v[124:125], -v[122:123]
	v_mul_f64 v[44:45], v[84:85], s[26:27]
	v_mul_f64 v[124:125], v[128:129], s[26:27]
	v_mul_f64 v[126:127], v[130:131], s[20:21]
	v_add_f64 v[12:13], v[12:13], v[20:21]
	v_mul_f64 v[20:21], v[120:121], s[16:17]
	v_add_f64 v[2:3], v[82:83], v[118:119]
	v_mul_f64 v[88:89], v[88:89], s[20:21]
	v_add_f64 v[4:5], v[86:87], v[40:41]
	v_fma_f64 v[136:137], v[32:33], s[10:11], v[28:29]
	v_fma_f64 v[28:29], v[120:121], s[16:17], -v[28:29]
	v_mul_f64 v[146:147], v[30:31], v[96:97]
	v_mul_f64 v[148:149], v[38:39], v[100:101]
	v_fma_f64 v[20:21], v[32:33], s[12:13], -v[20:21]
	v_fma_f64 v[32:33], v[122:123], s[18:19], -v[44:45]
	;; [unrolled: 1-line block ×3, first 2 shown]
	v_fma_f64 v[118:119], v[118:119], s[6:7], v[2:3]
	v_fma_f64 v[8:9], v[8:9], s[24:25], -v[126:127]
	v_mul_f64 v[150:151], v[42:43], v[114:115]
	v_fma_f64 v[84:85], v[84:85], s[26:27], v[88:89]
	v_fma_f64 v[88:89], v[122:123], s[24:25], -v[88:89]
	v_fma_f64 v[40:41], v[40:41], s[6:7], v[4:5]
	v_fma_f64 v[120:121], v[36:37], s[4:5], v[136:137]
	;; [unrolled: 1-line block ×4, first 2 shown]
	v_add_f64 v[36:37], v[44:45], v[118:119]
	v_add_f64 v[44:45], v[8:9], v[118:119]
	v_mul_f64 v[8:9], v[22:23], v[114:115]
	v_mul_f64 v[142:143], v[46:47], v[110:111]
	v_add_f64 v[122:123], v[84:85], v[40:41]
	v_add_f64 v[32:33], v[32:33], v[40:41]
	v_add_f64 v[40:41], v[88:89], v[40:41]
	v_mul_f64 v[88:89], v[18:19], v[100:101]
	v_fma_f64 v[100:101], v[6:7], v[90:91], v[144:145]
	v_fma_f64 v[114:115], v[10:11], v[94:95], v[146:147]
	;; [unrolled: 1-line block ×4, first 2 shown]
	v_mul_f64 v[130:131], v[134:135], s[22:23]
	v_mul_f64 v[134:135], v[16:17], s[16:17]
	v_fma_f64 v[42:43], v[42:43], v[112:113], -v[8:9]
	v_mul_f64 v[8:9], v[10:11], v[96:97]
	v_mul_f64 v[6:7], v[6:7], v[92:93]
	v_mul_f64 v[110:111], v[14:15], v[110:111]
	v_fma_f64 v[38:39], v[38:39], v[98:99], -v[88:89]
	v_fma_f64 v[14:15], v[14:15], v[108:109], v[142:143]
	v_add_f64 v[88:89], v[100:101], -v[114:115]
	v_add_f64 v[92:93], v[18:19], -v[22:23]
	v_fma_f64 v[124:125], v[132:133], s[12:13], -v[134:135]
	v_fma_f64 v[30:31], v[30:31], v[94:95], -v[8:9]
	;; [unrolled: 1-line block ×5, first 2 shown]
	v_fma_f64 v[86:87], v[132:133], s[10:11], v[130:131]
	v_fma_f64 v[16:17], v[16:17], s[16:17], -v[130:131]
	v_add_f64 v[90:91], v[116:117], -v[14:15]
	v_add_f64 v[94:95], v[88:89], -v[92:93]
	v_fma_f64 v[124:125], v[12:13], s[4:5], v[124:125]
	v_add_f64 v[102:103], v[38:39], v[42:43]
	v_add_f64 v[108:109], v[34:35], v[30:31]
	;; [unrolled: 1-line block ×5, first 2 shown]
	v_fma_f64 v[86:87], v[12:13], s[4:5], v[86:87]
	v_fma_f64 v[96:97], v[12:13], s[4:5], v[16:17]
	v_add_f64 v[12:13], v[40:41], -v[28:29]
	v_add_f64 v[16:17], v[28:29], v[40:41]
	v_add_f64 v[40:41], v[90:91], -v[88:89]
	v_mul_f64 v[94:95], v[94:95], s[22:23]
	v_add_f64 v[22:23], v[88:89], v[92:93]
	v_add_f64 v[6:7], v[36:37], -v[124:125]
	v_add_f64 v[18:19], v[124:125], v[36:37]
	v_add_f64 v[28:29], v[108:109], -v[102:103]
	v_add_f64 v[36:37], v[110:111], v[112:113]
	v_add_f64 v[88:89], v[100:101], v[114:115]
	;; [unrolled: 1-line block ×3, first 2 shown]
	v_add_f64 v[30:31], v[34:35], -v[30:31]
	v_add_f64 v[34:35], v[38:39], -v[42:43]
	v_add_f64 v[8:9], v[20:21], v[32:33]
	v_add_f64 v[10:11], v[96:97], v[44:45]
	v_add_f64 v[14:15], v[44:45], -v[96:97]
	v_add_f64 v[20:21], v[32:33], -v[20:21]
	v_fma_f64 v[32:33], v[40:41], s[10:11], v[94:95]
	v_add_f64 v[96:97], v[90:91], v[22:23]
	v_add_f64 v[22:23], v[98:99], -v[108:109]
	v_mul_f64 v[38:39], v[28:29], s[20:21]
	v_add_f64 v[36:37], v[88:89], v[36:37]
	v_add_f64 v[26:27], v[26:27], -v[46:47]
	v_add_f64 v[44:45], v[108:109], v[104:105]
	v_fma_f64 v[82:83], v[128:129], s[26:27], v[126:127]
	v_add_f64 v[42:43], v[30:31], -v[34:35]
	v_fma_f64 v[100:101], v[96:97], s[4:5], v[32:33]
	v_add_f64 v[32:33], v[88:89], -v[112:113]
	v_fma_f64 v[46:47], v[22:23], s[26:27], v[38:39]
	v_mul_f64 v[104:105], v[22:23], s[26:27]
	v_add_f64 v[22:23], v[0:1], v[36:37]
	v_add_f64 v[0:1], v[110:111], -v[88:89]
	v_add_f64 v[108:109], v[26:27], -v[30:31]
	v_add_f64 v[90:91], v[92:93], -v[90:91]
	v_add_f64 v[30:31], v[30:31], v[34:35]
	v_add_f64 v[34:35], v[34:35], -v[26:27]
	v_add_f64 v[24:25], v[24:25], v[44:45]
	v_add_f64 v[98:99], v[102:103], -v[98:99]
	v_add_f64 v[126:127], v[82:83], v[118:119]
	v_mul_f64 v[42:43], v[42:43], s[22:23]
	v_mul_f64 v[88:89], v[32:33], s[20:21]
	v_add_f64 v[102:103], v[112:113], -v[110:111]
	v_mul_f64 v[92:93], v[0:1], s[26:27]
	v_mul_f64 v[116:117], v[90:91], s[16:17]
	;; [unrolled: 1-line block ×3, first 2 shown]
	v_fma_f64 v[44:45], v[44:45], s[6:7], v[24:25]
	v_fma_f64 v[38:39], v[98:99], s[24:25], -v[38:39]
	v_add_f64 v[82:83], v[126:127], -v[86:87]
	v_add_f64 v[30:31], v[26:27], v[30:31]
	v_add_f64 v[26:27], v[86:87], v[126:127]
	v_fma_f64 v[86:87], v[98:99], s[18:19], -v[104:105]
	v_fma_f64 v[90:91], v[90:91], s[16:17], -v[94:95]
	;; [unrolled: 1-line block ×3, first 2 shown]
	v_fma_f64 v[36:37], v[36:37], s[6:7], v[22:23]
	v_fma_f64 v[0:1], v[0:1], s[26:27], v[88:89]
	;; [unrolled: 1-line block ×3, first 2 shown]
	v_fma_f64 v[88:89], v[102:103], s[24:25], -v[88:89]
	v_fma_f64 v[40:41], v[40:41], s[12:13], -v[116:117]
	;; [unrolled: 1-line block ×4, first 2 shown]
	v_add_f64 v[42:43], v[38:39], v[44:45]
	v_mul_hi_u32 v38, v106, s29
	v_add_f64 v[46:47], v[46:47], v[44:45]
	v_add_f64 v[86:87], v[86:87], v[44:45]
	v_fma_f64 v[44:45], v[96:97], s[4:5], v[90:91]
	v_fma_f64 v[90:91], v[30:31], s[4:5], v[34:35]
	v_lshrrev_b32_e32 v34, 5, v38
	v_add_f64 v[0:1], v[0:1], v[36:37]
	v_fma_f64 v[104:105], v[30:31], s[4:5], v[114:115]
	v_add_f64 v[88:89], v[88:89], v[36:37]
	v_mul_lo_u32 v80, v34, s28
	v_fma_f64 v[94:95], v[96:97], s[4:5], v[40:41]
	v_add_f64 v[92:93], v[92:93], v[36:37]
	v_fma_f64 v[98:99], v[30:31], s[4:5], v[108:109]
	v_sub_u32_e32 v102, v106, v80
	v_mad_u64_u32 v[96:97], s[30:31], s2, v102, 0
	v_add_f64 v[30:31], v[0:1], -v[104:105]
	v_add_f64 v[40:41], v[42:43], -v[44:45]
	v_add_f64 v[38:39], v[90:91], v[88:89]
	v_add_f64 v[44:45], v[44:45], v[42:43]
	v_add_f64 v[42:43], v[88:89], -v[90:91]
	v_add_f64 v[90:91], v[104:105], v[0:1]
	v_lshlrev_b64 v[0:1], 4, v[74:75]
	v_mov_b32_e32 v80, v97
	v_add_f64 v[32:33], v[100:101], v[46:47]
	v_add_f64 v[36:37], v[94:95], v[86:87]
	v_add_f64 v[34:35], v[92:93], -v[98:99]
	v_add_f64 v[88:89], v[86:87], -v[94:95]
	v_mad_u64_u32 v[94:95], s[30:31], s3, v102, v[80:81]
	v_add_f64 v[86:87], v[98:99], v[92:93]
	v_add_f64 v[92:93], v[46:47], -v[100:101]
	v_mov_b32_e32 v46, s15
	v_add_co_u32_e32 v74, vcc, s14, v0
	v_add_u32_e32 v80, 0x90, v102
	v_addc_co_u32_e32 v75, vcc, v46, v1, vcc
	v_mad_u64_u32 v[46:47], s[14:15], s2, v80, 0
	v_lshlrev_b64 v[0:1], 4, v[72:73]
	v_mov_b32_e32 v97, v94
	v_add_co_u32_e32 v0, vcc, v74, v0
	v_addc_co_u32_e32 v1, vcc, v75, v1, vcc
	v_mad_u64_u32 v[74:75], s[14:15], s3, v80, v[47:48]
	v_lshlrev_b64 v[72:73], 4, v[96:97]
	v_add_f64 v[28:29], v[122:123], -v[120:121]
	v_add_co_u32_e32 v72, vcc, v0, v72
	v_addc_co_u32_e32 v73, vcc, v1, v73, vcc
	v_mov_b32_e32 v47, v74
	global_store_dwordx4 v[72:73], v[22:25], off
	v_add_f64 v[84:85], v[120:121], v[122:123]
	v_lshlrev_b64 v[22:23], 4, v[46:47]
	v_add_u32_e32 v46, 0x120, v102
	v_mad_u64_u32 v[24:25], s[14:15], s2, v46, 0
	v_add_co_u32_e32 v22, vcc, v0, v22
	v_mad_u64_u32 v[46:47], s[14:15], s3, v46, v[25:26]
	v_add_u32_e32 v47, 0x1b0, v102
	v_mad_u64_u32 v[72:73], s[14:15], s2, v47, 0
	v_addc_co_u32_e32 v23, vcc, v1, v23, vcc
	v_mov_b32_e32 v25, v46
	global_store_dwordx4 v[22:23], v[90:93], off
	v_lshlrev_b64 v[22:23], 4, v[24:25]
	v_mov_b32_e32 v24, v73
	v_mad_u64_u32 v[24:25], s[14:15], s3, v47, v[24:25]
	v_add_u32_e32 v46, 0x240, v102
	v_add_co_u32_e32 v22, vcc, v0, v22
	v_mov_b32_e32 v73, v24
	v_mad_u64_u32 v[24:25], s[14:15], s2, v46, 0
	v_addc_co_u32_e32 v23, vcc, v1, v23, vcc
	v_mad_u64_u32 v[46:47], s[14:15], s3, v46, v[25:26]
	global_store_dwordx4 v[22:23], v[86:89], off
	v_lshlrev_b64 v[22:23], 4, v[72:73]
	v_mov_b32_e32 v25, v46
	v_add_co_u32_e32 v22, vcc, v0, v22
	v_addc_co_u32_e32 v23, vcc, v1, v23, vcc
	global_store_dwordx4 v[22:23], v[42:45], off
	v_lshlrev_b64 v[22:23], 4, v[24:25]
	v_add_u32_e32 v47, 0x2d0, v102
	v_add_co_u32_e32 v22, vcc, v0, v22
	v_addc_co_u32_e32 v23, vcc, v1, v23, vcc
	v_mad_u64_u32 v[72:73], s[14:15], s2, v47, 0
	global_store_dwordx4 v[22:23], v[38:41], off
	v_mov_b32_e32 v24, v73
	v_add_u32_e32 v38, 56, v106
	v_mul_hi_u32 v39, v38, s29
	v_mad_u64_u32 v[24:25], s[14:15], s3, v47, v[24:25]
	v_add_u32_e32 v40, 0x360, v102
	v_lshrrev_b32_e32 v39, 5, v39
	v_mul_lo_u32 v41, v39, s28
	v_mov_b32_e32 v73, v24
	v_mad_u64_u32 v[24:25], s[14:15], s2, v40, 0
	v_sub_u32_e32 v38, v38, v41
	s_movk_i32 s14, 0x3f0
	v_mad_u64_u32 v[38:39], s[14:15], v39, s14, v[38:39]
	v_mad_u64_u32 v[39:40], s[14:15], s3, v40, v[25:26]
	v_lshlrev_b64 v[22:23], 4, v[72:73]
	v_mad_u64_u32 v[40:41], s[14:15], s2, v38, 0
	v_add_co_u32_e32 v22, vcc, v0, v22
	v_addc_co_u32_e32 v23, vcc, v1, v23, vcc
	v_mov_b32_e32 v25, v39
	global_store_dwordx4 v[22:23], v[34:37], off
	v_lshlrev_b64 v[22:23], 4, v[24:25]
	v_mov_b32_e32 v24, v41
	v_mad_u64_u32 v[24:25], s[14:15], s3, v38, v[24:25]
	v_add_co_u32_e32 v22, vcc, v0, v22
	v_addc_co_u32_e32 v23, vcc, v1, v23, vcc
	global_store_dwordx4 v[22:23], v[30:33], off
	v_mov_b32_e32 v41, v24
	v_add_u32_e32 v30, 0x90, v38
	v_mad_u64_u32 v[24:25], s[14:15], s2, v30, 0
	v_add_u32_e32 v33, 0x120, v38
	v_lshlrev_b64 v[22:23], 4, v[40:41]
	v_mad_u64_u32 v[30:31], s[14:15], s3, v30, v[25:26]
	v_mad_u64_u32 v[31:32], s[14:15], s2, v33, 0
	v_add_co_u32_e32 v22, vcc, v0, v22
	v_addc_co_u32_e32 v23, vcc, v1, v23, vcc
	global_store_dwordx4 v[22:23], v[2:5], off
	v_add_u32_e32 v22, 0x1b0, v38
	v_mov_b32_e32 v4, v32
	v_mad_u64_u32 v[4:5], s[14:15], s3, v33, v[4:5]
	v_mov_b32_e32 v25, v30
	v_lshlrev_b64 v[2:3], 4, v[24:25]
	v_mov_b32_e32 v32, v4
	v_mad_u64_u32 v[4:5], s[14:15], s2, v22, 0
	v_add_co_u32_e32 v2, vcc, v0, v2
	v_addc_co_u32_e32 v3, vcc, v1, v3, vcc
	v_mad_u64_u32 v[22:23], s[14:15], s3, v22, v[5:6]
	v_add_u32_e32 v25, 0x240, v38
	global_store_dwordx4 v[2:3], v[26:29], off
	v_lshlrev_b64 v[2:3], 4, v[31:32]
	v_mad_u64_u32 v[23:24], s[14:15], s2, v25, 0
	v_add_co_u32_e32 v2, vcc, v0, v2
	v_addc_co_u32_e32 v3, vcc, v1, v3, vcc
	v_mov_b32_e32 v5, v22
	global_store_dwordx4 v[2:3], v[18:21], off
	v_lshlrev_b64 v[2:3], 4, v[4:5]
	v_mov_b32_e32 v4, v24
	v_mad_u64_u32 v[4:5], s[14:15], s3, v25, v[4:5]
	v_add_co_u32_e32 v2, vcc, v0, v2
	v_addc_co_u32_e32 v3, vcc, v1, v3, vcc
	global_store_dwordx4 v[2:3], v[14:17], off
	v_mov_b32_e32 v24, v4
	v_add_u32_e32 v14, 0x2d0, v38
	v_mad_u64_u32 v[4:5], s[14:15], s2, v14, 0
	v_add_u32_e32 v17, 0x360, v38
	v_lshlrev_b64 v[2:3], 4, v[23:24]
	v_mad_u64_u32 v[14:15], s[14:15], s3, v14, v[5:6]
	v_mad_u64_u32 v[15:16], s[14:15], s2, v17, 0
	v_add_co_u32_e32 v2, vcc, v0, v2
	v_addc_co_u32_e32 v3, vcc, v1, v3, vcc
	v_mov_b32_e32 v5, v14
	global_store_dwordx4 v[2:3], v[10:13], off
	v_lshlrev_b64 v[2:3], 4, v[4:5]
	v_mov_b32_e32 v4, v16
	v_mad_u64_u32 v[4:5], s[14:15], s3, v17, v[4:5]
	v_add_co_u32_e32 v2, vcc, v0, v2
	v_addc_co_u32_e32 v3, vcc, v1, v3, vcc
	v_mov_b32_e32 v16, v4
	global_store_dwordx4 v[2:3], v[6:9], off
	v_lshlrev_b64 v[2:3], 4, v[15:16]
	v_add_co_u32_e32 v2, vcc, v0, v2
	v_addc_co_u32_e32 v3, vcc, v1, v3, vcc
	global_store_dwordx4 v[2:3], v[82:85], off
	v_add_u32_e32 v2, 0x70, v106
	v_cmp_gt_u32_e32 vcc, s28, v2
	s_and_b64 exec, exec, vcc
	s_cbranch_execz .LBB0_20
; %bb.19:
	v_subrev_u32_e32 v3, 32, v106
	v_cndmask_b32_e64 v3, v3, v107, s[0:1]
	v_mul_i32_i24_e32 v80, 6, v3
	v_lshlrev_b64 v[3:4], 4, v[80:81]
	v_mov_b32_e32 v5, s9
	v_add_co_u32_e32 v27, vcc, s8, v3
	v_addc_co_u32_e32 v28, vcc, v5, v4, vcc
	global_load_dwordx4 v[3:6], v[27:28], off offset:2272
	global_load_dwordx4 v[7:10], v[27:28], off offset:2288
	;; [unrolled: 1-line block ×6, first 2 shown]
	v_add_u32_e32 v37, 0x100, v106
	v_mad_u64_u32 v[27:28], s[0:1], s2, v2, 0
	v_add_u32_e32 v38, 0x190, v106
	v_mad_u64_u32 v[29:30], s[0:1], s2, v37, 0
	v_mad_u64_u32 v[31:32], s[0:1], s2, v38, 0
	;; [unrolled: 1-line block ×3, first 2 shown]
	v_mov_b32_e32 v2, v30
	v_mov_b32_e32 v28, v32
	v_add_u32_e32 v72, 0x220, v106
	v_mad_u64_u32 v[33:34], s[0:1], s2, v72, 0
	s_waitcnt vmcnt(5)
	v_mad_u64_u32 v[36:37], s[0:1], s3, v37, v[2:3]
	v_mad_u64_u32 v[37:38], s[0:1], s3, v38, v[28:29]
	v_mov_b32_e32 v28, v35
	v_mov_b32_e32 v30, v36
	;; [unrolled: 1-line block ×3, first 2 shown]
	v_mul_f64 v[35:36], v[68:69], v[5:6]
	v_mul_f64 v[5:6], v[50:51], v[5:6]
	s_waitcnt vmcnt(4)
	v_mul_f64 v[37:38], v[64:65], v[9:10]
	v_mul_f64 v[9:10], v[52:53], v[9:10]
	s_waitcnt vmcnt(3)
	;; [unrolled: 3-line block ×4, first 2 shown]
	v_mul_f64 v[45:46], v[76:77], v[25:26]
	v_mul_f64 v[25:26], v[58:59], v[25:26]
	;; [unrolled: 1-line block ×4, first 2 shown]
	v_fma_f64 v[35:36], v[50:51], v[3:4], v[35:36]
	v_fma_f64 v[2:3], v[68:69], v[3:4], -v[5:6]
	v_fma_f64 v[4:5], v[52:53], v[7:8], v[37:38]
	v_fma_f64 v[6:7], v[64:65], v[7:8], -v[9:10]
	;; [unrolled: 2-line block ×6, first 2 shown]
	v_add_f64 v[16:17], v[35:36], v[8:9]
	v_add_f64 v[37:38], v[2:3], v[19:20]
	v_add_f64 v[8:9], v[35:36], -v[8:9]
	v_add_f64 v[2:3], v[2:3], -v[19:20]
	v_add_f64 v[18:19], v[4:5], v[12:13]
	v_add_f64 v[35:36], v[6:7], v[23:24]
	v_add_f64 v[4:5], v[4:5], -v[12:13]
	v_add_f64 v[6:7], v[6:7], -v[23:24]
	;; [unrolled: 4-line block ×4, first 2 shown]
	v_add_f64 v[16:17], v[16:17], -v[12:13]
	v_add_f64 v[37:38], v[37:38], -v[23:24]
	;; [unrolled: 1-line block ×4, first 2 shown]
	v_add_f64 v[43:44], v[20:21], v[4:5]
	v_add_f64 v[45:46], v[10:11], v[6:7]
	v_add_f64 v[50:51], v[20:21], -v[4:5]
	v_add_f64 v[52:53], v[10:11], -v[6:7]
	v_add_f64 v[12:13], v[12:13], v[14:15]
	v_add_f64 v[14:15], v[23:24], v[25:26]
	v_add_f64 v[54:55], v[4:5], -v[8:9]
	v_add_f64 v[6:7], v[6:7], -v[2:3]
	;; [unrolled: 1-line block ×4, first 2 shown]
	v_add_f64 v[8:9], v[43:44], v[8:9]
	v_add_f64 v[22:23], v[45:46], v[2:3]
	v_mul_f64 v[16:17], v[16:17], s[26:27]
	v_mul_f64 v[24:25], v[37:38], s[26:27]
	;; [unrolled: 1-line block ×6, first 2 shown]
	v_add_f64 v[2:3], v[48:49], v[12:13]
	v_add_f64 v[4:5], v[62:63], v[14:15]
	v_mul_f64 v[52:53], v[54:55], s[16:17]
	v_mul_f64 v[56:57], v[6:7], s[16:17]
	v_fma_f64 v[18:19], v[18:19], s[20:21], v[16:17]
	v_fma_f64 v[35:36], v[35:36], s[20:21], v[24:25]
	v_fma_f64 v[37:38], v[39:40], s[24:25], -v[37:38]
	v_fma_f64 v[43:44], v[41:42], s[24:25], -v[43:44]
	;; [unrolled: 1-line block ×4, first 2 shown]
	v_fma_f64 v[39:40], v[20:21], s[10:11], v[45:46]
	v_fma_f64 v[41:42], v[10:11], s[10:11], v[50:51]
	;; [unrolled: 1-line block ×4, first 2 shown]
	v_fma_f64 v[6:7], v[6:7], s[16:17], -v[50:51]
	v_fma_f64 v[20:21], v[20:21], s[12:13], -v[52:53]
	;; [unrolled: 1-line block ×4, first 2 shown]
	v_fma_f64 v[39:40], v[8:9], s[4:5], v[39:40]
	v_fma_f64 v[41:42], v[22:23], s[4:5], v[41:42]
	v_add_f64 v[49:50], v[18:19], v[12:13]
	v_add_f64 v[35:36], v[35:36], v[14:15]
	v_lshlrev_b64 v[27:28], 4, v[27:28]
	v_fma_f64 v[47:48], v[22:23], s[4:5], v[6:7]
	v_add_co_u32_e32 v27, vcc, v0, v27
	v_addc_co_u32_e32 v28, vcc, v1, v28, vcc
	v_fma_f64 v[20:21], v[8:9], s[4:5], v[20:21]
	v_fma_f64 v[22:23], v[22:23], s[4:5], v[10:11]
	v_add_f64 v[18:19], v[37:38], v[12:13]
	v_add_f64 v[37:38], v[43:44], v[14:15]
	;; [unrolled: 1-line block ×4, first 2 shown]
	global_store_dwordx4 v[27:28], v[2:5], off
	v_fma_f64 v[45:46], v[8:9], s[4:5], v[45:46]
	v_add_f64 v[2:3], v[41:42], v[49:50]
	v_add_f64 v[4:5], v[35:36], -v[39:40]
	v_lshlrev_b64 v[29:30], 4, v[29:30]
	v_add_u32_e32 v26, 0x2b0, v106
	v_add_co_u32_e32 v29, vcc, v0, v29
	v_addc_co_u32_e32 v30, vcc, v1, v30, vcc
	v_add_f64 v[6:7], v[22:23], v[43:44]
	v_add_f64 v[8:9], v[24:25], -v[20:21]
	global_store_dwordx4 v[29:30], v[2:5], off
	v_lshlrev_b64 v[31:32], 4, v[31:32]
	v_mov_b32_e32 v2, v34
	v_mad_u64_u32 v[2:3], s[0:1], s3, v72, v[2:3]
	v_mad_u64_u32 v[3:4], s[0:1], s2, v26, 0
	v_add_f64 v[10:11], v[18:19], -v[47:48]
	v_add_f64 v[12:13], v[45:46], v[37:38]
	v_add_co_u32_e32 v31, vcc, v0, v31
	v_addc_co_u32_e32 v32, vcc, v1, v32, vcc
	v_mov_b32_e32 v34, v2
	v_mov_b32_e32 v2, v4
	global_store_dwordx4 v[31:32], v[6:9], off
	v_add_f64 v[14:15], v[47:48], v[18:19]
	v_lshlrev_b64 v[5:6], 4, v[33:34]
	v_mad_u64_u32 v[7:8], s[0:1], s3, v26, v[2:3]
	v_add_co_u32_e32 v4, vcc, v0, v5
	v_addc_co_u32_e32 v5, vcc, v1, v6, vcc
	global_store_dwordx4 v[4:5], v[10:13], off
	v_mov_b32_e32 v4, v7
	v_add_u32_e32 v6, 0x340, v106
	v_lshlrev_b64 v[2:3], 4, v[3:4]
	v_mad_u64_u32 v[4:5], s[0:1], s2, v6, 0
	v_add_f64 v[16:17], v[37:38], -v[45:46]
	v_add_u32_e32 v8, 0x3d0, v106
	v_mad_u64_u32 v[5:6], s[0:1], s3, v6, v[5:6]
	v_mad_u64_u32 v[6:7], s[0:1], s2, v8, 0
	v_add_f64 v[18:19], v[43:44], -v[22:23]
	v_add_f64 v[20:21], v[20:21], v[24:25]
	v_add_co_u32_e32 v2, vcc, v0, v2
	v_addc_co_u32_e32 v3, vcc, v1, v3, vcc
	global_store_dwordx4 v[2:3], v[14:17], off
	v_lshlrev_b64 v[2:3], 4, v[4:5]
	v_mov_b32_e32 v4, v7
	v_mad_u64_u32 v[4:5], s[0:1], s3, v8, v[4:5]
	v_add_f64 v[22:23], v[49:50], -v[41:42]
	v_add_f64 v[24:25], v[39:40], v[35:36]
	v_add_co_u32_e32 v2, vcc, v0, v2
	v_addc_co_u32_e32 v3, vcc, v1, v3, vcc
	v_mov_b32_e32 v7, v4
	global_store_dwordx4 v[2:3], v[18:21], off
	v_lshlrev_b64 v[2:3], 4, v[6:7]
	v_add_co_u32_e32 v0, vcc, v0, v2
	v_addc_co_u32_e32 v1, vcc, v1, v3, vcc
	global_store_dwordx4 v[0:1], v[22:25], off
.LBB0_20:
	s_endpgm
	.section	.rodata,"a",@progbits
	.p2align	6, 0x0
	.amdhsa_kernel fft_rtc_back_len1008_factors_2_2_2_2_3_3_7_wgs_56_tpt_56_halfLds_dp_op_CI_CI_sbrr_dirReg
		.amdhsa_group_segment_fixed_size 0
		.amdhsa_private_segment_fixed_size 0
		.amdhsa_kernarg_size 104
		.amdhsa_user_sgpr_count 6
		.amdhsa_user_sgpr_private_segment_buffer 1
		.amdhsa_user_sgpr_dispatch_ptr 0
		.amdhsa_user_sgpr_queue_ptr 0
		.amdhsa_user_sgpr_kernarg_segment_ptr 1
		.amdhsa_user_sgpr_dispatch_id 0
		.amdhsa_user_sgpr_flat_scratch_init 0
		.amdhsa_user_sgpr_private_segment_size 0
		.amdhsa_uses_dynamic_stack 0
		.amdhsa_system_sgpr_private_segment_wavefront_offset 0
		.amdhsa_system_sgpr_workgroup_id_x 1
		.amdhsa_system_sgpr_workgroup_id_y 0
		.amdhsa_system_sgpr_workgroup_id_z 0
		.amdhsa_system_sgpr_workgroup_info 0
		.amdhsa_system_vgpr_workitem_id 0
		.amdhsa_next_free_vgpr 166
		.amdhsa_next_free_sgpr 32
		.amdhsa_reserve_vcc 1
		.amdhsa_reserve_flat_scratch 0
		.amdhsa_float_round_mode_32 0
		.amdhsa_float_round_mode_16_64 0
		.amdhsa_float_denorm_mode_32 3
		.amdhsa_float_denorm_mode_16_64 3
		.amdhsa_dx10_clamp 1
		.amdhsa_ieee_mode 1
		.amdhsa_fp16_overflow 0
		.amdhsa_exception_fp_ieee_invalid_op 0
		.amdhsa_exception_fp_denorm_src 0
		.amdhsa_exception_fp_ieee_div_zero 0
		.amdhsa_exception_fp_ieee_overflow 0
		.amdhsa_exception_fp_ieee_underflow 0
		.amdhsa_exception_fp_ieee_inexact 0
		.amdhsa_exception_int_div_zero 0
	.end_amdhsa_kernel
	.text
.Lfunc_end0:
	.size	fft_rtc_back_len1008_factors_2_2_2_2_3_3_7_wgs_56_tpt_56_halfLds_dp_op_CI_CI_sbrr_dirReg, .Lfunc_end0-fft_rtc_back_len1008_factors_2_2_2_2_3_3_7_wgs_56_tpt_56_halfLds_dp_op_CI_CI_sbrr_dirReg
                                        ; -- End function
	.section	.AMDGPU.csdata,"",@progbits
; Kernel info:
; codeLenInByte = 14944
; NumSgprs: 36
; NumVgprs: 166
; ScratchSize: 0
; MemoryBound: 1
; FloatMode: 240
; IeeeMode: 1
; LDSByteSize: 0 bytes/workgroup (compile time only)
; SGPRBlocks: 4
; VGPRBlocks: 41
; NumSGPRsForWavesPerEU: 36
; NumVGPRsForWavesPerEU: 166
; Occupancy: 1
; WaveLimiterHint : 1
; COMPUTE_PGM_RSRC2:SCRATCH_EN: 0
; COMPUTE_PGM_RSRC2:USER_SGPR: 6
; COMPUTE_PGM_RSRC2:TRAP_HANDLER: 0
; COMPUTE_PGM_RSRC2:TGID_X_EN: 1
; COMPUTE_PGM_RSRC2:TGID_Y_EN: 0
; COMPUTE_PGM_RSRC2:TGID_Z_EN: 0
; COMPUTE_PGM_RSRC2:TIDIG_COMP_CNT: 0
	.type	__hip_cuid_8fe11644f57c23ce,@object ; @__hip_cuid_8fe11644f57c23ce
	.section	.bss,"aw",@nobits
	.globl	__hip_cuid_8fe11644f57c23ce
__hip_cuid_8fe11644f57c23ce:
	.byte	0                               ; 0x0
	.size	__hip_cuid_8fe11644f57c23ce, 1

	.ident	"AMD clang version 19.0.0git (https://github.com/RadeonOpenCompute/llvm-project roc-6.4.0 25133 c7fe45cf4b819c5991fe208aaa96edf142730f1d)"
	.section	".note.GNU-stack","",@progbits
	.addrsig
	.addrsig_sym __hip_cuid_8fe11644f57c23ce
	.amdgpu_metadata
---
amdhsa.kernels:
  - .args:
      - .actual_access:  read_only
        .address_space:  global
        .offset:         0
        .size:           8
        .value_kind:     global_buffer
      - .offset:         8
        .size:           8
        .value_kind:     by_value
      - .actual_access:  read_only
        .address_space:  global
        .offset:         16
        .size:           8
        .value_kind:     global_buffer
      - .actual_access:  read_only
        .address_space:  global
        .offset:         24
        .size:           8
        .value_kind:     global_buffer
      - .actual_access:  read_only
        .address_space:  global
        .offset:         32
        .size:           8
        .value_kind:     global_buffer
      - .offset:         40
        .size:           8
        .value_kind:     by_value
      - .actual_access:  read_only
        .address_space:  global
        .offset:         48
        .size:           8
        .value_kind:     global_buffer
      - .actual_access:  read_only
        .address_space:  global
        .offset:         56
        .size:           8
        .value_kind:     global_buffer
      - .offset:         64
        .size:           4
        .value_kind:     by_value
      - .actual_access:  read_only
        .address_space:  global
        .offset:         72
        .size:           8
        .value_kind:     global_buffer
      - .actual_access:  read_only
        .address_space:  global
        .offset:         80
        .size:           8
        .value_kind:     global_buffer
      - .actual_access:  read_only
        .address_space:  global
        .offset:         88
        .size:           8
        .value_kind:     global_buffer
      - .actual_access:  write_only
        .address_space:  global
        .offset:         96
        .size:           8
        .value_kind:     global_buffer
    .group_segment_fixed_size: 0
    .kernarg_segment_align: 8
    .kernarg_segment_size: 104
    .language:       OpenCL C
    .language_version:
      - 2
      - 0
    .max_flat_workgroup_size: 56
    .name:           fft_rtc_back_len1008_factors_2_2_2_2_3_3_7_wgs_56_tpt_56_halfLds_dp_op_CI_CI_sbrr_dirReg
    .private_segment_fixed_size: 0
    .sgpr_count:     36
    .sgpr_spill_count: 0
    .symbol:         fft_rtc_back_len1008_factors_2_2_2_2_3_3_7_wgs_56_tpt_56_halfLds_dp_op_CI_CI_sbrr_dirReg.kd
    .uniform_work_group_size: 1
    .uses_dynamic_stack: false
    .vgpr_count:     166
    .vgpr_spill_count: 0
    .wavefront_size: 64
amdhsa.target:   amdgcn-amd-amdhsa--gfx906
amdhsa.version:
  - 1
  - 2
...

	.end_amdgpu_metadata
